;; amdgpu-corpus repo=ROCm/aiter kind=harvested arch=n/a opt=n/a

/root/src/amdgpu-assembly/repos/ROCm__aiter/hsa/gfx942/topksoftmax/topksoftmax_12x256x8.co:	file format elf64-amdgpu

Disassembly of section .text:

0000000000001c00 <_ZN5aiter20topksoftmax_12x256x8E>:
	s_and_b32 s1, s1, 0xffff                                   // 000000001C00: 8601FF01 0000FFFF
	s_load_dwordx2 s[4:5], s[0:1], 0x0                         // 000000001C08: C0060100 00000000
	s_load_dwordx2 s[8:9], s[0:1], 0x10                        // 000000001C10: C0060200 00000010
	s_load_dwordx2 s[12:13], s[0:1], 0x20                      // 000000001C18: C0060300 00000020
	s_load_dword s16, s[0:1], 0x30                             // 000000001C20: C0020400 00000030
	s_load_dword s17, s[0:1], 0x40                             // 000000001C28: C0020440 00000040
	s_load_dword s18, s[0:1], 0x50                             // 000000001C30: C0020480 00000050
	s_load_dword s98, s[0:1], 0x60                             // 000000001C38: C0021880 00000060
	s_load_dword s99, s[0:1], 0x70                             // 000000001C40: C00218C0 00000070
	v_lshrrev_b32_e32 v1, 10, v0                               // 000000001C48: 2002008A
	v_lshrrev_b32_e32 v2, 10, v1                               // 000000001C4C: 2004028A
	v_and_b32_e32 v2, 0x3ff, v2                                // 000000001C50: 260404FF 000003FF
	v_and_b32_e32 v1, 0x3ff, v1                                // 000000001C58: 260202FF 000003FF
	v_and_b32_e32 v0, 0x3ff, v0                                // 000000001C60: 260000FF 000003FF
	v_lshrrev_b32_e32 v3, 6, v0                                // 000000001C68: 20060086
	v_and_b32_e32 v0, 63, v0                                   // 000000001C6C: 260000BF
	s_mov_b32 s19, s2                                          // 000000001C70: BE930002
	v_readfirstlane_b32 s96, v3                                // 000000001C74: 7EC00503
	s_waitcnt lgkmcnt(0)                                       // 000000001C78: BF8CC07F
	s_mov_b32 s6, -16                                          // 000000001C7C: BE8600D0
	s_mov_b32 s10, -16                                         // 000000001C80: BE8A00D0
	s_mov_b32 s14, -16                                         // 000000001C84: BE8E00D0
	s_mov_b32 s7, 0x20000                                      // 000000001C88: BE8700FF 00020000
	s_mov_b32 s11, 0x20000                                     // 000000001C90: BE8B00FF 00020000
	s_mov_b32 s15, 0x20000                                     // 000000001C98: BE8F00FF 00020000
	s_and_b32 s5, s5, 0xffff                                   // 000000001CA0: 8605FF05 0000FFFF
	s_and_b32 s9, s9, 0xffff                                   // 000000001CA8: 8609FF09 0000FFFF
	s_and_b32 s13, s13, 0xffff                                 // 000000001CB0: 860DFF0D 0000FFFF
	s_or_b32 s5, s5, 0x40000                                   // 000000001CB8: 8705FF05 00040000
	s_or_b32 s9, s9, 0x40000                                   // 000000001CC0: 8709FF09 00040000
	s_or_b32 s13, s13, 0x40000                                 // 000000001CC8: 870DFF0D 00040000
	s_mul_i32 s20, s16, s17                                    // 000000001CD0: 92141110
	s_mul_i32 s20, s20, 4                                      // 000000001CD4: 92148414
	s_mov_b32 s14, s20                                         // 000000001CD8: BE8E0014
	v_lshlrev_b32_e32 v8, 2, v0                                // 000000001CDC: 24100082
	s_mul_i32 s20, s17, 4                                      // 000000001CE0: 92148411
	s_mul_i32 s21, s19, 12                                     // 000000001CE4: 92158C13
	s_add_i32 s21, s21, s96                                    // 000000001CE8: 81156015
	s_mul_i32 s22, s20, s21                                    // 000000001CEC: 92161514
	v_add_u32_e32 v8, s22, v8                                  // 000000001CF0: 68101016
	s_mul_i32 s23, s20, 4                                      // 000000001CF4: 92178414
	v_add_u32_e32 v9, s23, v8                                  // 000000001CF8: 68121017
	v_add_u32_e32 v10, s23, v9                                 // 000000001CFC: 68141217
	buffer_load_dword v17, v8, s[12:15], 0 offen               // 000000001D00: E0501000 80031108
	buffer_load_dword v18, v8, s[12:15], 0 offen offset:256    // 000000001D08: E0501100 80031208
	buffer_load_dword v19, v8, s[12:15], 0 offen offset:512    // 000000001D10: E0501200 80031308
	buffer_load_dword v20, v8, s[12:15], 0 offen offset:768    // 000000001D18: E0501300 80031408
	buffer_load_dword v21, v9, s[12:15], 0 offen               // 000000001D20: E0501000 80031509
	buffer_load_dword v22, v9, s[12:15], 0 offen offset:256    // 000000001D28: E0501100 80031609
	buffer_load_dword v23, v9, s[12:15], 0 offen offset:512    // 000000001D30: E0501200 80031709
	buffer_load_dword v24, v9, s[12:15], 0 offen offset:768    // 000000001D38: E0501300 80031809
	buffer_load_dword v25, v10, s[12:15], 0 offen              // 000000001D40: E0501000 8003190A
	buffer_load_dword v26, v10, s[12:15], 0 offen offset:256   // 000000001D48: E0501100 80031A0A
	buffer_load_dword v27, v10, s[12:15], 0 offen offset:512   // 000000001D50: E0501200 80031B0A
	buffer_load_dword v28, v10, s[12:15], 0 offen offset:768   // 000000001D58: E0501300 80031C0A
	v_mov_b32_e32 v35, 0                                       // 000000001D60: 7E460280
	v_mov_b32_e32 v36, 0                                       // 000000001D64: 7E480280
	v_mov_b32_e32 v37, 0                                       // 000000001D68: 7E4A0280
	v_mov_b32_e32 v38, 0                                       // 000000001D6C: 7E4C0280
	v_mov_b32_e32 v39, 0                                       // 000000001D70: 7E4E0280
	v_mov_b32_e32 v40, 0                                       // 000000001D74: 7E500280
	v_mov_b32_e32 v41, 0                                       // 000000001D78: 7E520280
	v_mov_b32_e32 v42, 0                                       // 000000001D7C: 7E540280
	v_mov_b32_e32 v43, 0                                       // 000000001D80: 7E560280
	v_mov_b32_e32 v44, 0                                       // 000000001D84: 7E580280
	v_mov_b32_e32 v45, 0                                       // 000000001D88: 7E5A0280
	v_mov_b32_e32 v46, 0                                       // 000000001D8C: 7E5C0280
	v_mov_b32_e32 v29, 0                                       // 000000001D90: 7E3A0280
	v_mov_b32_e32 v30, 0                                       // 000000001D94: 7E3C0280
	v_mov_b32_e32 v31, 0                                       // 000000001D98: 7E3E0280
	v_mov_b32_e32 v32, 0                                       // 000000001D9C: 7E400280
	v_mov_b32_e32 v33, 0                                       // 000000001DA0: 7E420280
	v_mov_b32_e32 v34, 0                                       // 000000001DA4: 7E440280
	v_mov_b32_e32 v47, 0                                       // 000000001DA8: 7E5E0280
	v_mov_b32_e32 v48, 0                                       // 000000001DAC: 7E600280
	v_mov_b32_e32 v49, 0                                       // 000000001DB0: 7E620280
	s_mov_b32 s18, 8                                           // 000000001DB4: BE920088
	v_lshlrev_b32_e32 v11, 2, v0                               // 000000001DB8: 24160082
	s_mov_b32 s20, s99                                         // 000000001DBC: BE940063
	s_mul_i32 s21, s19, 12                                     // 000000001DC0: 92158C13
	s_add_i32 s21, s21, s96                                    // 000000001DC4: 81156015
	s_mul_i32 s22, s20, s21                                    // 000000001DC8: 92161514
	v_add_u32_e32 v11, s22, v11                                // 000000001DCC: 68161616
	s_mul_i32 s23, s20, 4                                      // 000000001DD0: 92178414
	v_add_u32_e32 v12, s23, v11                                // 000000001DD4: 68181617
	v_add_u32_e32 v13, s23, v12                                // 000000001DD8: 681A1817
	v_mov_b32_e32 v14, v11                                     // 000000001DDC: 7E1C030B
	v_mov_b32_e32 v15, v12                                     // 000000001DE0: 7E1E030C
	v_mov_b32_e32 v16, v13                                     // 000000001DE4: 7E20030D
	s_mul_i32 s20, s16, s99                                    // 000000001DE8: 92146310
	s_mov_b32 s6, s20                                          // 000000001DEC: BE860014
	s_mov_b32 s10, s20                                         // 000000001DF0: BE8A0014
	s_mov_b32 s97, 0x3fb8aa3b                                  // 000000001DF4: BEE100FF 3FB8AA3B
	s_mov_b32 s72, 0                                           // 000000001DFC: BEC80080
	s_mov_b32 s73, 0                                           // 000000001E00: BEC90080
	s_mov_b32 s74, 0                                           // 000000001E04: BECA0080
	s_mov_b32 s75, 0                                           // 000000001E08: BECB0080
	s_mov_b32 s76, 0                                           // 000000001E0C: BECC0080
	s_mov_b32 s77, 0                                           // 000000001E10: BECD0080
	s_mov_b32 s78, 0                                           // 000000001E14: BECE0080
	s_mov_b32 s79, 0                                           // 000000001E18: BECF0080
	s_mov_b32 s80, 0                                           // 000000001E1C: BED00080
	s_mov_b32 s81, 0                                           // 000000001E20: BED10080
	s_mov_b32 s82, 0                                           // 000000001E24: BED20080
	s_mov_b32 s83, 0                                           // 000000001E28: BED30080
	s_mov_b32 s84, 0                                           // 000000001E2C: BED40080
	s_mov_b32 s85, 0                                           // 000000001E30: BED50080
	s_mov_b32 s86, 0                                           // 000000001E34: BED60080
	s_mov_b32 s87, 0                                           // 000000001E38: BED70080
	s_mov_b32 s88, 0                                           // 000000001E3C: BED80080
	s_mov_b32 s89, 0                                           // 000000001E40: BED90080
	s_mov_b32 s90, 0                                           // 000000001E44: BEDA0080
	s_mov_b32 s91, 0                                           // 000000001E48: BEDB0080
	s_mov_b32 s92, 0                                           // 000000001E4C: BEDC0080
	s_mov_b32 s93, 0                                           // 000000001E50: BEDD0080
	s_mov_b32 s94, 0                                           // 000000001E54: BEDE0080
	s_mov_b32 s95, 0                                           // 000000001E58: BEDF0080
	s_waitcnt vmcnt(0) expcnt(0) lgkmcnt(0)                    // 000000001E5C: BF8C0000
	v_mul_f32_e64 v17, v17, s97                                // 000000001E60: D1050011 0000C311
	v_exp_f32_e32 v17, v17                                     // 000000001E68: 7E224111
	v_mul_f32_e64 v18, v18, s97                                // 000000001E6C: D1050012 0000C312
	v_exp_f32_e32 v18, v18                                     // 000000001E74: 7E244112
	v_mul_f32_e64 v19, v19, s97                                // 000000001E78: D1050013 0000C313
	v_exp_f32_e32 v19, v19                                     // 000000001E80: 7E264113
	v_mul_f32_e64 v20, v20, s97                                // 000000001E84: D1050014 0000C314
	v_exp_f32_e32 v20, v20                                     // 000000001E8C: 7E284114
	v_mul_f32_e64 v21, v21, s97                                // 000000001E90: D1050015 0000C315
	v_exp_f32_e32 v21, v21                                     // 000000001E98: 7E2A4115
	v_mul_f32_e64 v22, v22, s97                                // 000000001E9C: D1050016 0000C316
	v_exp_f32_e32 v22, v22                                     // 000000001EA4: 7E2C4116
	v_mul_f32_e64 v23, v23, s97                                // 000000001EA8: D1050017 0000C317
	v_exp_f32_e32 v23, v23                                     // 000000001EB0: 7E2E4117
	v_mul_f32_e64 v24, v24, s97                                // 000000001EB4: D1050018 0000C318
	v_exp_f32_e32 v24, v24                                     // 000000001EBC: 7E304118
	v_mul_f32_e64 v25, v25, s97                                // 000000001EC0: D1050019 0000C319
	v_exp_f32_e32 v25, v25                                     // 000000001EC8: 7E324119
	v_mul_f32_e64 v26, v26, s97                                // 000000001ECC: D105001A 0000C31A
	v_exp_f32_e32 v26, v26                                     // 000000001ED4: 7E34411A
	v_mul_f32_e64 v27, v27, s97                                // 000000001ED8: D105001B 0000C31B
	v_exp_f32_e32 v27, v27                                     // 000000001EE0: 7E36411B
	v_mul_f32_e64 v28, v28, s97                                // 000000001EE4: D105001C 0000C31C
	v_exp_f32_e32 v28, v28                                     // 000000001EEC: 7E38411C
	v_add_f32_e32 v35, v35, v17                                // 000000001EF0: 02462323
	v_add_f32_e32 v35, v35, v18                                // 000000001EF4: 02462523
	v_add_f32_e32 v35, v35, v19                                // 000000001EF8: 02462723
	v_add_f32_e32 v35, v35, v20                                // 000000001EFC: 02462923
	v_add_f32_e32 v37, v37, v21                                // 000000001F00: 024A2B25
	v_add_f32_e32 v37, v37, v22                                // 000000001F04: 024A2D25
	v_add_f32_e32 v37, v37, v23                                // 000000001F08: 024A2F25
	v_add_f32_e32 v37, v37, v24                                // 000000001F0C: 024A3125
	v_add_f32_e32 v39, v39, v25                                // 000000001F10: 024E3327
	v_add_f32_e32 v39, v39, v26                                // 000000001F14: 024E3527
	v_add_f32_e32 v39, v39, v27                                // 000000001F18: 024E3727
	v_add_f32_e32 v39, v39, v28                                // 000000001F1C: 024E3927
	v_add_f32_dpp v4, v35, v35 quad_perm:[1,0,3,2] row_mask:0xf bank_mask:0xf// 000000001F20: 020846FA FF00B123
	v_add_f32_dpp v5, v37, v37 quad_perm:[1,0,3,2] row_mask:0xf bank_mask:0xf// 000000001F28: 020A4AFA FF00B125
	v_add_f32_dpp v6, v39, v39 quad_perm:[1,0,3,2] row_mask:0xf bank_mask:0xf// 000000001F30: 020C4EFA FF00B127
	v_add_f32_dpp v4, v4, v4 quad_perm:[2,3,0,1] row_mask:0xf bank_mask:0xf// 000000001F38: 020808FA FF004E04
	v_add_f32_dpp v5, v5, v5 quad_perm:[2,3,0,1] row_mask:0xf bank_mask:0xf// 000000001F40: 020A0AFA FF004E05
	v_add_f32_dpp v6, v6, v6 quad_perm:[2,3,0,1] row_mask:0xf bank_mask:0xf// 000000001F48: 020C0CFA FF004E06
	v_add_f32_dpp v4, v4, v4 row_shr:4 row_mask:0xf bank_mask:0xf// 000000001F50: 020808FA FF011404
	v_add_f32_dpp v5, v5, v5 row_shr:4 row_mask:0xf bank_mask:0xf// 000000001F58: 020A0AFA FF011405
	v_add_f32_dpp v6, v6, v6 row_shr:4 row_mask:0xf bank_mask:0xf// 000000001F60: 020C0CFA FF011406
	v_add_f32_dpp v4, v4, v4 row_shr:8 row_mask:0xf bank_mask:0xf// 000000001F68: 020808FA FF011804
	v_add_f32_dpp v5, v5, v5 row_shr:8 row_mask:0xf bank_mask:0xf// 000000001F70: 020A0AFA FF011805
	v_add_f32_dpp v6, v6, v6 row_shr:8 row_mask:0xf bank_mask:0xf// 000000001F78: 020C0CFA FF011806
	v_add_f32_dpp v4, v4, v4 row_bcast:15 row_mask:0xf bank_mask:0xf// 000000001F80: 020808FA FF014204
	v_add_f32_dpp v5, v5, v5 row_bcast:15 row_mask:0xf bank_mask:0xf// 000000001F88: 020A0AFA FF014205
	v_add_f32_dpp v6, v6, v6 row_bcast:15 row_mask:0xf bank_mask:0xf// 000000001F90: 020C0CFA FF014206
	v_add_f32_dpp v4, v4, v4 row_bcast:31 row_mask:0xf bank_mask:0xf// 000000001F98: 020808FA FF014304
	v_add_f32_dpp v5, v5, v5 row_bcast:31 row_mask:0xf bank_mask:0xf// 000000001FA0: 020A0AFA FF014305
	v_add_f32_dpp v6, v6, v6 row_bcast:31 row_mask:0xf bank_mask:0xf// 000000001FA8: 020C0CFA FF014306
	v_readlane_b32 s20, v4, 63                                 // 000000001FB0: D2890014 00017F04
	v_mov_b32_e32 v36, s20                                     // 000000001FB8: 7E480214
	v_readlane_b32 s21, v5, 63                                 // 000000001FBC: D2890015 00017F05
	v_mov_b32_e32 v38, s21                                     // 000000001FC4: 7E4C0215
	v_readlane_b32 s22, v6, 63                                 // 000000001FC8: D2890016 00017F06
	v_mov_b32_e32 v40, s22                                     // 000000001FD0: 7E500216
	v_rcp_f32_e32 v35, v36                                     // 000000001FD4: 7E464524
	v_rcp_f32_e32 v37, v38                                     // 000000001FD8: 7E4A4526
	v_rcp_f32_e32 v39, v40                                     // 000000001FDC: 7E4E4528
	v_mul_f32_e32 v17, v17, v35                                // 000000001FE0: 0A224711
	v_mul_f32_e32 v18, v18, v35                                // 000000001FE4: 0A244712
	v_mul_f32_e32 v19, v19, v35                                // 000000001FE8: 0A264713
	v_mul_f32_e32 v20, v20, v35                                // 000000001FEC: 0A284714
	v_mul_f32_e32 v21, v21, v37                                // 000000001FF0: 0A2A4B15
	v_mul_f32_e32 v22, v22, v37                                // 000000001FF4: 0A2C4B16
	v_mul_f32_e32 v23, v23, v37                                // 000000001FF8: 0A2E4B17
	v_mul_f32_e32 v24, v24, v37                                // 000000001FFC: 0A304B18
	v_mul_f32_e32 v25, v25, v39                                // 000000002000: 0A324F19
	v_mul_f32_e32 v26, v26, v39                                // 000000002004: 0A344F1A
	v_mul_f32_e32 v27, v27, v39                                // 000000002008: 0A364F1B
	v_mul_f32_e32 v28, v28, v39                                // 00000000200C: 0A384F1C
	s_cmp_eq_u32 s98, 0                                        // 000000002010: BF068062
	s_cbranch_scc0 label_06E4                                  // 000000002014: BF8405DE
	v_max_f32_e32 v41, v17, v18                                // 000000002018: 16522511
	v_max3_f32 v41, v41, v19, v20                              // 00000000201C: D1D30029 04522729
	v_max_f32_e32 v42, v21, v22                                // 000000002024: 16542D15
	v_max3_f32 v42, v42, v23, v24                              // 000000002028: D1D3002A 04622F2A
	v_max_f32_e32 v43, v25, v26                                // 000000002030: 16563519
	v_max3_f32 v43, v43, v27, v28                              // 000000002034: D1D3002B 0472372B
	v_max_f32_dpp v4, v41, v41 quad_perm:[1,0,3,2] row_mask:0xf bank_mask:0xf// 00000000203C: 160852FA FF00B129
	v_max_f32_dpp v5, v42, v42 quad_perm:[1,0,3,2] row_mask:0xf bank_mask:0xf// 000000002044: 160A54FA FF00B12A
	v_max_f32_dpp v6, v43, v43 quad_perm:[1,0,3,2] row_mask:0xf bank_mask:0xf// 00000000204C: 160C56FA FF00B12B
	v_max_f32_dpp v4, v4, v4 quad_perm:[2,3,0,1] row_mask:0xf bank_mask:0xf// 000000002054: 160808FA FF004E04
	v_max_f32_dpp v5, v5, v5 quad_perm:[2,3,0,1] row_mask:0xf bank_mask:0xf// 00000000205C: 160A0AFA FF004E05
	v_max_f32_dpp v6, v6, v6 quad_perm:[2,3,0,1] row_mask:0xf bank_mask:0xf// 000000002064: 160C0CFA FF004E06
	v_max_f32_dpp v4, v4, v4 row_shr:4 row_mask:0xf bank_mask:0xf// 00000000206C: 160808FA FF011404
	v_max_f32_dpp v5, v5, v5 row_shr:4 row_mask:0xf bank_mask:0xf// 000000002074: 160A0AFA FF011405
	v_max_f32_dpp v6, v6, v6 row_shr:4 row_mask:0xf bank_mask:0xf// 00000000207C: 160C0CFA FF011406
	v_max_f32_dpp v4, v4, v4 row_shr:8 row_mask:0xf bank_mask:0xf// 000000002084: 160808FA FF011804
	v_max_f32_dpp v5, v5, v5 row_shr:8 row_mask:0xf bank_mask:0xf// 00000000208C: 160A0AFA FF011805
	v_max_f32_dpp v6, v6, v6 row_shr:8 row_mask:0xf bank_mask:0xf// 000000002094: 160C0CFA FF011806
	v_max_f32_dpp v4, v4, v4 row_bcast:15 row_mask:0xf bank_mask:0xf// 00000000209C: 160808FA FF014204
	v_max_f32_dpp v5, v5, v5 row_bcast:15 row_mask:0xf bank_mask:0xf// 0000000020A4: 160A0AFA FF014205
	v_max_f32_dpp v6, v6, v6 row_bcast:15 row_mask:0xf bank_mask:0xf// 0000000020AC: 160C0CFA FF014206
	v_max_f32_dpp v4, v4, v4 row_bcast:31 row_mask:0xf bank_mask:0xf// 0000000020B4: 160808FA FF014304
	v_max_f32_dpp v5, v5, v5 row_bcast:31 row_mask:0xf bank_mask:0xf// 0000000020BC: 160A0AFA FF014305
	v_max_f32_dpp v6, v6, v6 row_bcast:31 row_mask:0xf bank_mask:0xf// 0000000020C4: 160C0CFA FF014306
	v_readlane_b32 s20, v4, 63                                 // 0000000020CC: D2890014 00017F04
	v_mov_b32_e32 v41, s20                                     // 0000000020D4: 7E520214
	v_readlane_b32 s21, v5, 63                                 // 0000000020D8: D2890015 00017F05
	v_mov_b32_e32 v42, s21                                     // 0000000020E0: 7E540215
	v_readlane_b32 s22, v6, 63                                 // 0000000020E4: D2890016 00017F06
	v_mov_b32_e32 v43, s22                                     // 0000000020EC: 7E560216
	v_cmp_eq_f32_e64 s[24:25], v41, v17                        // 0000000020F0: D0420018 00022329
	v_cmp_eq_f32_e64 s[26:27], v41, v18                        // 0000000020F8: D042001A 00022529
	v_cmp_eq_f32_e64 s[28:29], v41, v19                        // 000000002100: D042001C 00022729
	v_cmp_eq_f32_e64 s[30:31], v41, v20                        // 000000002108: D042001E 00022929
	s_ff1_i32_b64 s48, s[24:25]                                // 000000002110: BEB01118
	s_ff1_i32_b64 s49, s[26:27]                                // 000000002114: BEB1111A
	s_ff1_i32_b64 s50, s[28:29]                                // 000000002118: BEB2111C
	s_ff1_i32_b64 s51, s[30:31]                                // 00000000211C: BEB3111E
	v_cmp_eq_f32_e64 s[32:33], v42, v21                        // 000000002120: D0420020 00022B2A
	v_cmp_eq_f32_e64 s[34:35], v42, v22                        // 000000002128: D0420022 00022D2A
	v_cmp_eq_f32_e64 s[36:37], v42, v23                        // 000000002130: D0420024 00022F2A
	v_cmp_eq_f32_e64 s[38:39], v42, v24                        // 000000002138: D0420026 0002312A
	s_ff1_i32_b64 s52, s[32:33]                                // 000000002140: BEB41120
	s_ff1_i32_b64 s53, s[34:35]                                // 000000002144: BEB51122
	s_ff1_i32_b64 s54, s[36:37]                                // 000000002148: BEB61124
	s_ff1_i32_b64 s55, s[38:39]                                // 00000000214C: BEB71126
	v_cmp_eq_f32_e64 s[40:41], v43, v25                        // 000000002150: D0420028 0002332B
	v_cmp_eq_f32_e64 s[42:43], v43, v26                        // 000000002158: D042002A 0002352B
	v_cmp_eq_f32_e64 s[44:45], v43, v27                        // 000000002160: D042002C 0002372B
	v_cmp_eq_f32_e64 s[46:47], v43, v28                        // 000000002168: D042002E 0002392B
	s_ff1_i32_b64 s56, s[40:41]                                // 000000002170: BEB81128
	s_ff1_i32_b64 s57, s[42:43]                                // 000000002174: BEB9112A
	s_ff1_i32_b64 s58, s[44:45]                                // 000000002178: BEBA112C
	s_ff1_i32_b64 s59, s[46:47]                                // 00000000217C: BEBB112E
	v_readlane_b32 s20, v41, 0                                 // 000000002180: D2890014 00010129
	v_writelane_b32 v32, s20, 0                                // 000000002188: D28A0020 00010014
	v_readlane_b32 s21, v42, 0                                 // 000000002190: D2890015 0001012A
	v_writelane_b32 v33, s21, 0                                // 000000002198: D28A0021 00010015
	v_readlane_b32 s22, v43, 0                                 // 0000000021A0: D2890016 0001012B
	v_writelane_b32 v34, s22, 0                                // 0000000021A8: D28A0022 00010016
	s_mov_b32 s22, s48                                         // 0000000021B0: BE960030
	s_cmp_eq_u32 s48, -1                                       // 0000000021B4: BF06C130
	s_cselect_b32 s21, 1, 0                                    // 0000000021B8: 85158081
	s_cbranch_scc0 label_0180                                  // 0000000021BC: BF840010
	s_add_u32 s72, s21, s72                                    // 0000000021C0: 80484815
	s_mov_b32 s22, s49                                         // 0000000021C4: BE960031
	s_cmp_eq_u32 s49, -1                                       // 0000000021C8: BF06C131
	s_cselect_b32 s21, 1, 0                                    // 0000000021CC: 85158081
	s_cbranch_scc0 label_0180                                  // 0000000021D0: BF84000B
	s_add_u32 s72, s21, s72                                    // 0000000021D4: 80484815
	s_mov_b32 s22, s50                                         // 0000000021D8: BE960032
	s_cmp_eq_u32 s50, -1                                       // 0000000021DC: BF06C132
	s_cselect_b32 s21, 1, 0                                    // 0000000021E0: 85158081
	s_cbranch_scc0 label_0180                                  // 0000000021E4: BF840006
	s_add_u32 s72, s21, s72                                    // 0000000021E8: 80484815
	s_mov_b32 s22, s51                                         // 0000000021EC: BE960033
	s_cmp_eq_u32 s51, -1                                       // 0000000021F0: BF06C133
	s_cselect_b32 s21, 1, 0                                    // 0000000021F4: 85158081
	s_cbranch_scc0 label_0180                                  // 0000000021F8: BF840001
	s_add_u32 s72, s21, s72                                    // 0000000021FC: 80484815

0000000000002200 <label_0180>:
	s_set_gpr_idx_on s72, gpr_idx(DST)                         // 000000002200: BF110848
	v_writelane_b32 v17, 0, s22                                // 000000002204: D28A0011 00002C80
	s_set_gpr_idx_off                                          // 00000000220C: BF9C0000
	s_mul_i32 s72, 64, s72                                     // 000000002210: 924848C0
	s_add_u32 s72, s22, s72                                    // 000000002214: 80484816
	v_writelane_b32 v29, s72, 0                                // 000000002218: D28A001D 00010048
	s_mov_b32 s22, s52                                         // 000000002220: BE960034
	s_cmp_eq_u32 s52, -1                                       // 000000002224: BF06C134
	s_cselect_b32 s21, 1, 0                                    // 000000002228: 85158081
	s_cbranch_scc0 label_019C                                  // 00000000222C: BF840010
	s_add_u32 s80, s21, s80                                    // 000000002230: 80505015
	s_mov_b32 s22, s53                                         // 000000002234: BE960035
	s_cmp_eq_u32 s53, -1                                       // 000000002238: BF06C135
	s_cselect_b32 s21, 1, 0                                    // 00000000223C: 85158081
	s_cbranch_scc0 label_019C                                  // 000000002240: BF84000B
	s_add_u32 s80, s21, s80                                    // 000000002244: 80505015
	s_mov_b32 s22, s54                                         // 000000002248: BE960036
	s_cmp_eq_u32 s54, -1                                       // 00000000224C: BF06C136
	s_cselect_b32 s21, 1, 0                                    // 000000002250: 85158081
	s_cbranch_scc0 label_019C                                  // 000000002254: BF840006
	s_add_u32 s80, s21, s80                                    // 000000002258: 80505015
	s_mov_b32 s22, s55                                         // 00000000225C: BE960037
	s_cmp_eq_u32 s55, -1                                       // 000000002260: BF06C137
	s_cselect_b32 s21, 1, 0                                    // 000000002264: 85158081
	s_cbranch_scc0 label_019C                                  // 000000002268: BF840001
	s_add_u32 s80, s21, s80                                    // 00000000226C: 80505015

0000000000002270 <label_019C>:
	s_set_gpr_idx_on s80, gpr_idx(DST)                         // 000000002270: BF110850
	v_writelane_b32 v21, 0, s22                                // 000000002274: D28A0015 00002C80
	s_set_gpr_idx_off                                          // 00000000227C: BF9C0000
	s_mul_i32 s80, 64, s80                                     // 000000002280: 925050C0
	s_add_u32 s80, s22, s80                                    // 000000002284: 80505016
	v_writelane_b32 v30, s80, 0                                // 000000002288: D28A001E 00010050
	s_mov_b32 s22, s56                                         // 000000002290: BE960038
	s_cmp_eq_u32 s56, -1                                       // 000000002294: BF06C138
	s_cselect_b32 s21, 1, 0                                    // 000000002298: 85158081
	s_cbranch_scc0 label_01B8                                  // 00000000229C: BF840010
	s_add_u32 s88, s21, s88                                    // 0000000022A0: 80585815
	s_mov_b32 s22, s57                                         // 0000000022A4: BE960039
	s_cmp_eq_u32 s57, -1                                       // 0000000022A8: BF06C139
	s_cselect_b32 s21, 1, 0                                    // 0000000022AC: 85158081
	s_cbranch_scc0 label_01B8                                  // 0000000022B0: BF84000B
	s_add_u32 s88, s21, s88                                    // 0000000022B4: 80585815
	s_mov_b32 s22, s58                                         // 0000000022B8: BE96003A
	s_cmp_eq_u32 s58, -1                                       // 0000000022BC: BF06C13A
	s_cselect_b32 s21, 1, 0                                    // 0000000022C0: 85158081
	s_cbranch_scc0 label_01B8                                  // 0000000022C4: BF840006
	s_add_u32 s88, s21, s88                                    // 0000000022C8: 80585815
	s_mov_b32 s22, s59                                         // 0000000022CC: BE96003B
	s_cmp_eq_u32 s59, -1                                       // 0000000022D0: BF06C13B
	s_cselect_b32 s21, 1, 0                                    // 0000000022D4: 85158081
	s_cbranch_scc0 label_01B8                                  // 0000000022D8: BF840001
	s_add_u32 s88, s21, s88                                    // 0000000022DC: 80585815

00000000000022e0 <label_01B8>:
	s_set_gpr_idx_on s88, gpr_idx(DST)                         // 0000000022E0: BF110858
	v_writelane_b32 v25, 0, s22                                // 0000000022E4: D28A0019 00002C80
	s_set_gpr_idx_off                                          // 0000000022EC: BF9C0000
	s_mul_i32 s88, 64, s88                                     // 0000000022F0: 925858C0
	s_add_u32 s88, s22, s88                                    // 0000000022F4: 80585816
	v_writelane_b32 v31, s88, 0                                // 0000000022F8: D28A001F 00010058
	v_max_f32_e32 v41, v17, v18                                // 000000002300: 16522511
	v_max3_f32 v41, v41, v19, v20                              // 000000002304: D1D30029 04522729
	v_max_f32_e32 v42, v21, v22                                // 00000000230C: 16542D15
	v_max3_f32 v42, v42, v23, v24                              // 000000002310: D1D3002A 04622F2A
	v_max_f32_e32 v43, v25, v26                                // 000000002318: 16563519
	v_max3_f32 v43, v43, v27, v28                              // 00000000231C: D1D3002B 0472372B
	v_max_f32_dpp v4, v41, v41 quad_perm:[1,0,3,2] row_mask:0xf bank_mask:0xf// 000000002324: 160852FA FF00B129
	v_max_f32_dpp v5, v42, v42 quad_perm:[1,0,3,2] row_mask:0xf bank_mask:0xf// 00000000232C: 160A54FA FF00B12A
	v_max_f32_dpp v6, v43, v43 quad_perm:[1,0,3,2] row_mask:0xf bank_mask:0xf// 000000002334: 160C56FA FF00B12B
	v_max_f32_dpp v4, v4, v4 quad_perm:[2,3,0,1] row_mask:0xf bank_mask:0xf// 00000000233C: 160808FA FF004E04
	v_max_f32_dpp v5, v5, v5 quad_perm:[2,3,0,1] row_mask:0xf bank_mask:0xf// 000000002344: 160A0AFA FF004E05
	v_max_f32_dpp v6, v6, v6 quad_perm:[2,3,0,1] row_mask:0xf bank_mask:0xf// 00000000234C: 160C0CFA FF004E06
	v_max_f32_dpp v4, v4, v4 row_shr:4 row_mask:0xf bank_mask:0xf// 000000002354: 160808FA FF011404
	v_max_f32_dpp v5, v5, v5 row_shr:4 row_mask:0xf bank_mask:0xf// 00000000235C: 160A0AFA FF011405
	v_max_f32_dpp v6, v6, v6 row_shr:4 row_mask:0xf bank_mask:0xf// 000000002364: 160C0CFA FF011406
	v_max_f32_dpp v4, v4, v4 row_shr:8 row_mask:0xf bank_mask:0xf// 00000000236C: 160808FA FF011804
	v_max_f32_dpp v5, v5, v5 row_shr:8 row_mask:0xf bank_mask:0xf// 000000002374: 160A0AFA FF011805
	v_max_f32_dpp v6, v6, v6 row_shr:8 row_mask:0xf bank_mask:0xf// 00000000237C: 160C0CFA FF011806
	v_max_f32_dpp v4, v4, v4 row_bcast:15 row_mask:0xf bank_mask:0xf// 000000002384: 160808FA FF014204
	v_max_f32_dpp v5, v5, v5 row_bcast:15 row_mask:0xf bank_mask:0xf// 00000000238C: 160A0AFA FF014205
	v_max_f32_dpp v6, v6, v6 row_bcast:15 row_mask:0xf bank_mask:0xf// 000000002394: 160C0CFA FF014206
	v_max_f32_dpp v4, v4, v4 row_bcast:31 row_mask:0xf bank_mask:0xf// 00000000239C: 160808FA FF014304
	v_max_f32_dpp v5, v5, v5 row_bcast:31 row_mask:0xf bank_mask:0xf// 0000000023A4: 160A0AFA FF014305
	v_max_f32_dpp v6, v6, v6 row_bcast:31 row_mask:0xf bank_mask:0xf// 0000000023AC: 160C0CFA FF014306
	v_readlane_b32 s20, v4, 63                                 // 0000000023B4: D2890014 00017F04
	v_mov_b32_e32 v41, s20                                     // 0000000023BC: 7E520214
	v_readlane_b32 s21, v5, 63                                 // 0000000023C0: D2890015 00017F05
	v_mov_b32_e32 v42, s21                                     // 0000000023C8: 7E540215
	v_readlane_b32 s22, v6, 63                                 // 0000000023CC: D2890016 00017F06
	v_mov_b32_e32 v43, s22                                     // 0000000023D4: 7E560216
	v_cmp_eq_f32_e64 s[24:25], v41, v17                        // 0000000023D8: D0420018 00022329
	v_cmp_eq_f32_e64 s[26:27], v41, v18                        // 0000000023E0: D042001A 00022529
	v_cmp_eq_f32_e64 s[28:29], v41, v19                        // 0000000023E8: D042001C 00022729
	v_cmp_eq_f32_e64 s[30:31], v41, v20                        // 0000000023F0: D042001E 00022929
	s_ff1_i32_b64 s48, s[24:25]                                // 0000000023F8: BEB01118
	s_ff1_i32_b64 s49, s[26:27]                                // 0000000023FC: BEB1111A
	s_ff1_i32_b64 s50, s[28:29]                                // 000000002400: BEB2111C
	s_ff1_i32_b64 s51, s[30:31]                                // 000000002404: BEB3111E
	v_cmp_eq_f32_e64 s[32:33], v42, v21                        // 000000002408: D0420020 00022B2A
	v_cmp_eq_f32_e64 s[34:35], v42, v22                        // 000000002410: D0420022 00022D2A
	v_cmp_eq_f32_e64 s[36:37], v42, v23                        // 000000002418: D0420024 00022F2A
	v_cmp_eq_f32_e64 s[38:39], v42, v24                        // 000000002420: D0420026 0002312A
	s_ff1_i32_b64 s52, s[32:33]                                // 000000002428: BEB41120
	s_ff1_i32_b64 s53, s[34:35]                                // 00000000242C: BEB51122
	s_ff1_i32_b64 s54, s[36:37]                                // 000000002430: BEB61124
	s_ff1_i32_b64 s55, s[38:39]                                // 000000002434: BEB71126
	v_cmp_eq_f32_e64 s[40:41], v43, v25                        // 000000002438: D0420028 0002332B
	v_cmp_eq_f32_e64 s[42:43], v43, v26                        // 000000002440: D042002A 0002352B
	v_cmp_eq_f32_e64 s[44:45], v43, v27                        // 000000002448: D042002C 0002372B
	v_cmp_eq_f32_e64 s[46:47], v43, v28                        // 000000002450: D042002E 0002392B
	s_ff1_i32_b64 s56, s[40:41]                                // 000000002458: BEB81128
	s_ff1_i32_b64 s57, s[42:43]                                // 00000000245C: BEB9112A
	s_ff1_i32_b64 s58, s[44:45]                                // 000000002460: BEBA112C
	s_ff1_i32_b64 s59, s[46:47]                                // 000000002464: BEBB112E
	v_readlane_b32 s20, v41, 0                                 // 000000002468: D2890014 00010129
	v_writelane_b32 v32, s20, 1                                // 000000002470: D28A0020 00010214
	v_readlane_b32 s21, v42, 0                                 // 000000002478: D2890015 0001012A
	v_writelane_b32 v33, s21, 1                                // 000000002480: D28A0021 00010215
	v_readlane_b32 s22, v43, 0                                 // 000000002488: D2890016 0001012B
	v_writelane_b32 v34, s22, 1                                // 000000002490: D28A0022 00010216
	s_mov_b32 s22, s48                                         // 000000002498: BE960030
	s_cmp_eq_u32 s48, -1                                       // 00000000249C: BF06C130
	s_cselect_b32 s21, 1, 0                                    // 0000000024A0: 85158081
	s_cbranch_scc0 label_023A                                  // 0000000024A4: BF840010
	s_add_u32 s73, s21, s73                                    // 0000000024A8: 80494915
	s_mov_b32 s22, s49                                         // 0000000024AC: BE960031
	s_cmp_eq_u32 s49, -1                                       // 0000000024B0: BF06C131
	s_cselect_b32 s21, 1, 0                                    // 0000000024B4: 85158081
	s_cbranch_scc0 label_023A                                  // 0000000024B8: BF84000B
	s_add_u32 s73, s21, s73                                    // 0000000024BC: 80494915
	s_mov_b32 s22, s50                                         // 0000000024C0: BE960032
	s_cmp_eq_u32 s50, -1                                       // 0000000024C4: BF06C132
	s_cselect_b32 s21, 1, 0                                    // 0000000024C8: 85158081
	s_cbranch_scc0 label_023A                                  // 0000000024CC: BF840006
	s_add_u32 s73, s21, s73                                    // 0000000024D0: 80494915
	s_mov_b32 s22, s51                                         // 0000000024D4: BE960033
	s_cmp_eq_u32 s51, -1                                       // 0000000024D8: BF06C133
	s_cselect_b32 s21, 1, 0                                    // 0000000024DC: 85158081
	s_cbranch_scc0 label_023A                                  // 0000000024E0: BF840001
	s_add_u32 s73, s21, s73                                    // 0000000024E4: 80494915

00000000000024e8 <label_023A>:
	s_set_gpr_idx_on s73, gpr_idx(DST)                         // 0000000024E8: BF110849
	v_writelane_b32 v17, 0, s22                                // 0000000024EC: D28A0011 00002C80
	s_set_gpr_idx_off                                          // 0000000024F4: BF9C0000
	s_mul_i32 s73, 64, s73                                     // 0000000024F8: 924949C0
	s_add_u32 s73, s22, s73                                    // 0000000024FC: 80494916
	v_writelane_b32 v29, s73, 1                                // 000000002500: D28A001D 00010249
	s_mov_b32 s22, s52                                         // 000000002508: BE960034
	s_cmp_eq_u32 s52, -1                                       // 00000000250C: BF06C134
	s_cselect_b32 s21, 1, 0                                    // 000000002510: 85158081
	s_cbranch_scc0 label_0256                                  // 000000002514: BF840010
	s_add_u32 s81, s21, s81                                    // 000000002518: 80515115
	s_mov_b32 s22, s53                                         // 00000000251C: BE960035
	s_cmp_eq_u32 s53, -1                                       // 000000002520: BF06C135
	s_cselect_b32 s21, 1, 0                                    // 000000002524: 85158081
	s_cbranch_scc0 label_0256                                  // 000000002528: BF84000B
	s_add_u32 s81, s21, s81                                    // 00000000252C: 80515115
	s_mov_b32 s22, s54                                         // 000000002530: BE960036
	s_cmp_eq_u32 s54, -1                                       // 000000002534: BF06C136
	s_cselect_b32 s21, 1, 0                                    // 000000002538: 85158081
	s_cbranch_scc0 label_0256                                  // 00000000253C: BF840006
	s_add_u32 s81, s21, s81                                    // 000000002540: 80515115
	s_mov_b32 s22, s55                                         // 000000002544: BE960037
	s_cmp_eq_u32 s55, -1                                       // 000000002548: BF06C137
	s_cselect_b32 s21, 1, 0                                    // 00000000254C: 85158081
	s_cbranch_scc0 label_0256                                  // 000000002550: BF840001
	s_add_u32 s81, s21, s81                                    // 000000002554: 80515115

0000000000002558 <label_0256>:
	s_set_gpr_idx_on s81, gpr_idx(DST)                         // 000000002558: BF110851
	v_writelane_b32 v21, 0, s22                                // 00000000255C: D28A0015 00002C80
	s_set_gpr_idx_off                                          // 000000002564: BF9C0000
	s_mul_i32 s81, 64, s81                                     // 000000002568: 925151C0
	s_add_u32 s81, s22, s81                                    // 00000000256C: 80515116
	v_writelane_b32 v30, s81, 1                                // 000000002570: D28A001E 00010251
	s_mov_b32 s22, s56                                         // 000000002578: BE960038
	s_cmp_eq_u32 s56, -1                                       // 00000000257C: BF06C138
	s_cselect_b32 s21, 1, 0                                    // 000000002580: 85158081
	s_cbranch_scc0 label_0272                                  // 000000002584: BF840010
	s_add_u32 s89, s21, s89                                    // 000000002588: 80595915
	s_mov_b32 s22, s57                                         // 00000000258C: BE960039
	s_cmp_eq_u32 s57, -1                                       // 000000002590: BF06C139
	s_cselect_b32 s21, 1, 0                                    // 000000002594: 85158081
	s_cbranch_scc0 label_0272                                  // 000000002598: BF84000B
	s_add_u32 s89, s21, s89                                    // 00000000259C: 80595915
	s_mov_b32 s22, s58                                         // 0000000025A0: BE96003A
	s_cmp_eq_u32 s58, -1                                       // 0000000025A4: BF06C13A
	s_cselect_b32 s21, 1, 0                                    // 0000000025A8: 85158081
	s_cbranch_scc0 label_0272                                  // 0000000025AC: BF840006
	s_add_u32 s89, s21, s89                                    // 0000000025B0: 80595915
	s_mov_b32 s22, s59                                         // 0000000025B4: BE96003B
	s_cmp_eq_u32 s59, -1                                       // 0000000025B8: BF06C13B
	s_cselect_b32 s21, 1, 0                                    // 0000000025BC: 85158081
	s_cbranch_scc0 label_0272                                  // 0000000025C0: BF840001
	s_add_u32 s89, s21, s89                                    // 0000000025C4: 80595915

00000000000025c8 <label_0272>:
	s_set_gpr_idx_on s89, gpr_idx(DST)                         // 0000000025C8: BF110859
	v_writelane_b32 v25, 0, s22                                // 0000000025CC: D28A0019 00002C80
	s_set_gpr_idx_off                                          // 0000000025D4: BF9C0000
	s_mul_i32 s89, 64, s89                                     // 0000000025D8: 925959C0
	s_add_u32 s89, s22, s89                                    // 0000000025DC: 80595916
	v_writelane_b32 v31, s89, 1                                // 0000000025E0: D28A001F 00010259
	v_max_f32_e32 v41, v17, v18                                // 0000000025E8: 16522511
	v_max3_f32 v41, v41, v19, v20                              // 0000000025EC: D1D30029 04522729
	v_max_f32_e32 v42, v21, v22                                // 0000000025F4: 16542D15
	v_max3_f32 v42, v42, v23, v24                              // 0000000025F8: D1D3002A 04622F2A
	v_max_f32_e32 v43, v25, v26                                // 000000002600: 16563519
	v_max3_f32 v43, v43, v27, v28                              // 000000002604: D1D3002B 0472372B
	v_max_f32_dpp v4, v41, v41 quad_perm:[1,0,3,2] row_mask:0xf bank_mask:0xf// 00000000260C: 160852FA FF00B129
	v_max_f32_dpp v5, v42, v42 quad_perm:[1,0,3,2] row_mask:0xf bank_mask:0xf// 000000002614: 160A54FA FF00B12A
	v_max_f32_dpp v6, v43, v43 quad_perm:[1,0,3,2] row_mask:0xf bank_mask:0xf// 00000000261C: 160C56FA FF00B12B
	v_max_f32_dpp v4, v4, v4 quad_perm:[2,3,0,1] row_mask:0xf bank_mask:0xf// 000000002624: 160808FA FF004E04
	v_max_f32_dpp v5, v5, v5 quad_perm:[2,3,0,1] row_mask:0xf bank_mask:0xf// 00000000262C: 160A0AFA FF004E05
	v_max_f32_dpp v6, v6, v6 quad_perm:[2,3,0,1] row_mask:0xf bank_mask:0xf// 000000002634: 160C0CFA FF004E06
	v_max_f32_dpp v4, v4, v4 row_shr:4 row_mask:0xf bank_mask:0xf// 00000000263C: 160808FA FF011404
	v_max_f32_dpp v5, v5, v5 row_shr:4 row_mask:0xf bank_mask:0xf// 000000002644: 160A0AFA FF011405
	v_max_f32_dpp v6, v6, v6 row_shr:4 row_mask:0xf bank_mask:0xf// 00000000264C: 160C0CFA FF011406
	v_max_f32_dpp v4, v4, v4 row_shr:8 row_mask:0xf bank_mask:0xf// 000000002654: 160808FA FF011804
	v_max_f32_dpp v5, v5, v5 row_shr:8 row_mask:0xf bank_mask:0xf// 00000000265C: 160A0AFA FF011805
	v_max_f32_dpp v6, v6, v6 row_shr:8 row_mask:0xf bank_mask:0xf// 000000002664: 160C0CFA FF011806
	v_max_f32_dpp v4, v4, v4 row_bcast:15 row_mask:0xf bank_mask:0xf// 00000000266C: 160808FA FF014204
	v_max_f32_dpp v5, v5, v5 row_bcast:15 row_mask:0xf bank_mask:0xf// 000000002674: 160A0AFA FF014205
	v_max_f32_dpp v6, v6, v6 row_bcast:15 row_mask:0xf bank_mask:0xf// 00000000267C: 160C0CFA FF014206
	v_max_f32_dpp v4, v4, v4 row_bcast:31 row_mask:0xf bank_mask:0xf// 000000002684: 160808FA FF014304
	v_max_f32_dpp v5, v5, v5 row_bcast:31 row_mask:0xf bank_mask:0xf// 00000000268C: 160A0AFA FF014305
	v_max_f32_dpp v6, v6, v6 row_bcast:31 row_mask:0xf bank_mask:0xf// 000000002694: 160C0CFA FF014306
	v_readlane_b32 s20, v4, 63                                 // 00000000269C: D2890014 00017F04
	v_mov_b32_e32 v41, s20                                     // 0000000026A4: 7E520214
	v_readlane_b32 s21, v5, 63                                 // 0000000026A8: D2890015 00017F05
	v_mov_b32_e32 v42, s21                                     // 0000000026B0: 7E540215
	v_readlane_b32 s22, v6, 63                                 // 0000000026B4: D2890016 00017F06
	v_mov_b32_e32 v43, s22                                     // 0000000026BC: 7E560216
	v_cmp_eq_f32_e64 s[24:25], v41, v17                        // 0000000026C0: D0420018 00022329
	v_cmp_eq_f32_e64 s[26:27], v41, v18                        // 0000000026C8: D042001A 00022529
	v_cmp_eq_f32_e64 s[28:29], v41, v19                        // 0000000026D0: D042001C 00022729
	v_cmp_eq_f32_e64 s[30:31], v41, v20                        // 0000000026D8: D042001E 00022929
	s_ff1_i32_b64 s48, s[24:25]                                // 0000000026E0: BEB01118
	s_ff1_i32_b64 s49, s[26:27]                                // 0000000026E4: BEB1111A
	s_ff1_i32_b64 s50, s[28:29]                                // 0000000026E8: BEB2111C
	s_ff1_i32_b64 s51, s[30:31]                                // 0000000026EC: BEB3111E
	v_cmp_eq_f32_e64 s[32:33], v42, v21                        // 0000000026F0: D0420020 00022B2A
	v_cmp_eq_f32_e64 s[34:35], v42, v22                        // 0000000026F8: D0420022 00022D2A
	v_cmp_eq_f32_e64 s[36:37], v42, v23                        // 000000002700: D0420024 00022F2A
	v_cmp_eq_f32_e64 s[38:39], v42, v24                        // 000000002708: D0420026 0002312A
	s_ff1_i32_b64 s52, s[32:33]                                // 000000002710: BEB41120
	s_ff1_i32_b64 s53, s[34:35]                                // 000000002714: BEB51122
	s_ff1_i32_b64 s54, s[36:37]                                // 000000002718: BEB61124
	s_ff1_i32_b64 s55, s[38:39]                                // 00000000271C: BEB71126
	v_cmp_eq_f32_e64 s[40:41], v43, v25                        // 000000002720: D0420028 0002332B
	v_cmp_eq_f32_e64 s[42:43], v43, v26                        // 000000002728: D042002A 0002352B
	v_cmp_eq_f32_e64 s[44:45], v43, v27                        // 000000002730: D042002C 0002372B
	v_cmp_eq_f32_e64 s[46:47], v43, v28                        // 000000002738: D042002E 0002392B
	s_ff1_i32_b64 s56, s[40:41]                                // 000000002740: BEB81128
	s_ff1_i32_b64 s57, s[42:43]                                // 000000002744: BEB9112A
	s_ff1_i32_b64 s58, s[44:45]                                // 000000002748: BEBA112C
	s_ff1_i32_b64 s59, s[46:47]                                // 00000000274C: BEBB112E
	v_readlane_b32 s20, v41, 0                                 // 000000002750: D2890014 00010129
	v_writelane_b32 v32, s20, 2                                // 000000002758: D28A0020 00010414
	v_readlane_b32 s21, v42, 0                                 // 000000002760: D2890015 0001012A
	v_writelane_b32 v33, s21, 2                                // 000000002768: D28A0021 00010415
	v_readlane_b32 s22, v43, 0                                 // 000000002770: D2890016 0001012B
	v_writelane_b32 v34, s22, 2                                // 000000002778: D28A0022 00010416
	s_mov_b32 s22, s48                                         // 000000002780: BE960030
	s_cmp_eq_u32 s48, -1                                       // 000000002784: BF06C130
	s_cselect_b32 s21, 1, 0                                    // 000000002788: 85158081
	s_cbranch_scc0 label_02F4                                  // 00000000278C: BF840010
	s_add_u32 s74, s21, s74                                    // 000000002790: 804A4A15
	s_mov_b32 s22, s49                                         // 000000002794: BE960031
	s_cmp_eq_u32 s49, -1                                       // 000000002798: BF06C131
	s_cselect_b32 s21, 1, 0                                    // 00000000279C: 85158081
	s_cbranch_scc0 label_02F4                                  // 0000000027A0: BF84000B
	s_add_u32 s74, s21, s74                                    // 0000000027A4: 804A4A15
	s_mov_b32 s22, s50                                         // 0000000027A8: BE960032
	s_cmp_eq_u32 s50, -1                                       // 0000000027AC: BF06C132
	s_cselect_b32 s21, 1, 0                                    // 0000000027B0: 85158081
	s_cbranch_scc0 label_02F4                                  // 0000000027B4: BF840006
	s_add_u32 s74, s21, s74                                    // 0000000027B8: 804A4A15
	s_mov_b32 s22, s51                                         // 0000000027BC: BE960033
	s_cmp_eq_u32 s51, -1                                       // 0000000027C0: BF06C133
	s_cselect_b32 s21, 1, 0                                    // 0000000027C4: 85158081
	s_cbranch_scc0 label_02F4                                  // 0000000027C8: BF840001
	s_add_u32 s74, s21, s74                                    // 0000000027CC: 804A4A15

00000000000027d0 <label_02F4>:
	s_set_gpr_idx_on s74, gpr_idx(DST)                         // 0000000027D0: BF11084A
	v_writelane_b32 v17, 0, s22                                // 0000000027D4: D28A0011 00002C80
	s_set_gpr_idx_off                                          // 0000000027DC: BF9C0000
	s_mul_i32 s74, 64, s74                                     // 0000000027E0: 924A4AC0
	s_add_u32 s74, s22, s74                                    // 0000000027E4: 804A4A16
	v_writelane_b32 v29, s74, 2                                // 0000000027E8: D28A001D 0001044A
	s_mov_b32 s22, s52                                         // 0000000027F0: BE960034
	s_cmp_eq_u32 s52, -1                                       // 0000000027F4: BF06C134
	s_cselect_b32 s21, 1, 0                                    // 0000000027F8: 85158081
	s_cbranch_scc0 label_0310                                  // 0000000027FC: BF840010
	s_add_u32 s82, s21, s82                                    // 000000002800: 80525215
	s_mov_b32 s22, s53                                         // 000000002804: BE960035
	s_cmp_eq_u32 s53, -1                                       // 000000002808: BF06C135
	s_cselect_b32 s21, 1, 0                                    // 00000000280C: 85158081
	s_cbranch_scc0 label_0310                                  // 000000002810: BF84000B
	s_add_u32 s82, s21, s82                                    // 000000002814: 80525215
	s_mov_b32 s22, s54                                         // 000000002818: BE960036
	s_cmp_eq_u32 s54, -1                                       // 00000000281C: BF06C136
	s_cselect_b32 s21, 1, 0                                    // 000000002820: 85158081
	s_cbranch_scc0 label_0310                                  // 000000002824: BF840006
	s_add_u32 s82, s21, s82                                    // 000000002828: 80525215
	s_mov_b32 s22, s55                                         // 00000000282C: BE960037
	s_cmp_eq_u32 s55, -1                                       // 000000002830: BF06C137
	s_cselect_b32 s21, 1, 0                                    // 000000002834: 85158081
	s_cbranch_scc0 label_0310                                  // 000000002838: BF840001
	s_add_u32 s82, s21, s82                                    // 00000000283C: 80525215

0000000000002840 <label_0310>:
	s_set_gpr_idx_on s82, gpr_idx(DST)                         // 000000002840: BF110852
	v_writelane_b32 v21, 0, s22                                // 000000002844: D28A0015 00002C80
	s_set_gpr_idx_off                                          // 00000000284C: BF9C0000
	s_mul_i32 s82, 64, s82                                     // 000000002850: 925252C0
	s_add_u32 s82, s22, s82                                    // 000000002854: 80525216
	v_writelane_b32 v30, s82, 2                                // 000000002858: D28A001E 00010452
	s_mov_b32 s22, s56                                         // 000000002860: BE960038
	s_cmp_eq_u32 s56, -1                                       // 000000002864: BF06C138
	s_cselect_b32 s21, 1, 0                                    // 000000002868: 85158081
	s_cbranch_scc0 label_032C                                  // 00000000286C: BF840010
	s_add_u32 s90, s21, s90                                    // 000000002870: 805A5A15
	s_mov_b32 s22, s57                                         // 000000002874: BE960039
	s_cmp_eq_u32 s57, -1                                       // 000000002878: BF06C139
	s_cselect_b32 s21, 1, 0                                    // 00000000287C: 85158081
	s_cbranch_scc0 label_032C                                  // 000000002880: BF84000B
	s_add_u32 s90, s21, s90                                    // 000000002884: 805A5A15
	s_mov_b32 s22, s58                                         // 000000002888: BE96003A
	s_cmp_eq_u32 s58, -1                                       // 00000000288C: BF06C13A
	s_cselect_b32 s21, 1, 0                                    // 000000002890: 85158081
	s_cbranch_scc0 label_032C                                  // 000000002894: BF840006
	s_add_u32 s90, s21, s90                                    // 000000002898: 805A5A15
	s_mov_b32 s22, s59                                         // 00000000289C: BE96003B
	s_cmp_eq_u32 s59, -1                                       // 0000000028A0: BF06C13B
	s_cselect_b32 s21, 1, 0                                    // 0000000028A4: 85158081
	s_cbranch_scc0 label_032C                                  // 0000000028A8: BF840001
	s_add_u32 s90, s21, s90                                    // 0000000028AC: 805A5A15

00000000000028b0 <label_032C>:
	s_set_gpr_idx_on s90, gpr_idx(DST)                         // 0000000028B0: BF11085A
	v_writelane_b32 v25, 0, s22                                // 0000000028B4: D28A0019 00002C80
	s_set_gpr_idx_off                                          // 0000000028BC: BF9C0000
	s_mul_i32 s90, 64, s90                                     // 0000000028C0: 925A5AC0
	s_add_u32 s90, s22, s90                                    // 0000000028C4: 805A5A16
	v_writelane_b32 v31, s90, 2                                // 0000000028C8: D28A001F 0001045A
	v_max_f32_e32 v41, v17, v18                                // 0000000028D0: 16522511
	v_max3_f32 v41, v41, v19, v20                              // 0000000028D4: D1D30029 04522729
	v_max_f32_e32 v42, v21, v22                                // 0000000028DC: 16542D15
	v_max3_f32 v42, v42, v23, v24                              // 0000000028E0: D1D3002A 04622F2A
	v_max_f32_e32 v43, v25, v26                                // 0000000028E8: 16563519
	v_max3_f32 v43, v43, v27, v28                              // 0000000028EC: D1D3002B 0472372B
	v_max_f32_dpp v4, v41, v41 quad_perm:[1,0,3,2] row_mask:0xf bank_mask:0xf// 0000000028F4: 160852FA FF00B129
	v_max_f32_dpp v5, v42, v42 quad_perm:[1,0,3,2] row_mask:0xf bank_mask:0xf// 0000000028FC: 160A54FA FF00B12A
	v_max_f32_dpp v6, v43, v43 quad_perm:[1,0,3,2] row_mask:0xf bank_mask:0xf// 000000002904: 160C56FA FF00B12B
	v_max_f32_dpp v4, v4, v4 quad_perm:[2,3,0,1] row_mask:0xf bank_mask:0xf// 00000000290C: 160808FA FF004E04
	v_max_f32_dpp v5, v5, v5 quad_perm:[2,3,0,1] row_mask:0xf bank_mask:0xf// 000000002914: 160A0AFA FF004E05
	v_max_f32_dpp v6, v6, v6 quad_perm:[2,3,0,1] row_mask:0xf bank_mask:0xf// 00000000291C: 160C0CFA FF004E06
	v_max_f32_dpp v4, v4, v4 row_shr:4 row_mask:0xf bank_mask:0xf// 000000002924: 160808FA FF011404
	v_max_f32_dpp v5, v5, v5 row_shr:4 row_mask:0xf bank_mask:0xf// 00000000292C: 160A0AFA FF011405
	v_max_f32_dpp v6, v6, v6 row_shr:4 row_mask:0xf bank_mask:0xf// 000000002934: 160C0CFA FF011406
	v_max_f32_dpp v4, v4, v4 row_shr:8 row_mask:0xf bank_mask:0xf// 00000000293C: 160808FA FF011804
	v_max_f32_dpp v5, v5, v5 row_shr:8 row_mask:0xf bank_mask:0xf// 000000002944: 160A0AFA FF011805
	v_max_f32_dpp v6, v6, v6 row_shr:8 row_mask:0xf bank_mask:0xf// 00000000294C: 160C0CFA FF011806
	v_max_f32_dpp v4, v4, v4 row_bcast:15 row_mask:0xf bank_mask:0xf// 000000002954: 160808FA FF014204
	v_max_f32_dpp v5, v5, v5 row_bcast:15 row_mask:0xf bank_mask:0xf// 00000000295C: 160A0AFA FF014205
	v_max_f32_dpp v6, v6, v6 row_bcast:15 row_mask:0xf bank_mask:0xf// 000000002964: 160C0CFA FF014206
	v_max_f32_dpp v4, v4, v4 row_bcast:31 row_mask:0xf bank_mask:0xf// 00000000296C: 160808FA FF014304
	v_max_f32_dpp v5, v5, v5 row_bcast:31 row_mask:0xf bank_mask:0xf// 000000002974: 160A0AFA FF014305
	v_max_f32_dpp v6, v6, v6 row_bcast:31 row_mask:0xf bank_mask:0xf// 00000000297C: 160C0CFA FF014306
	v_readlane_b32 s20, v4, 63                                 // 000000002984: D2890014 00017F04
	v_mov_b32_e32 v41, s20                                     // 00000000298C: 7E520214
	v_readlane_b32 s21, v5, 63                                 // 000000002990: D2890015 00017F05
	v_mov_b32_e32 v42, s21                                     // 000000002998: 7E540215
	v_readlane_b32 s22, v6, 63                                 // 00000000299C: D2890016 00017F06
	v_mov_b32_e32 v43, s22                                     // 0000000029A4: 7E560216
	v_cmp_eq_f32_e64 s[24:25], v41, v17                        // 0000000029A8: D0420018 00022329
	v_cmp_eq_f32_e64 s[26:27], v41, v18                        // 0000000029B0: D042001A 00022529
	v_cmp_eq_f32_e64 s[28:29], v41, v19                        // 0000000029B8: D042001C 00022729
	v_cmp_eq_f32_e64 s[30:31], v41, v20                        // 0000000029C0: D042001E 00022929
	s_ff1_i32_b64 s48, s[24:25]                                // 0000000029C8: BEB01118
	s_ff1_i32_b64 s49, s[26:27]                                // 0000000029CC: BEB1111A
	s_ff1_i32_b64 s50, s[28:29]                                // 0000000029D0: BEB2111C
	s_ff1_i32_b64 s51, s[30:31]                                // 0000000029D4: BEB3111E
	v_cmp_eq_f32_e64 s[32:33], v42, v21                        // 0000000029D8: D0420020 00022B2A
	v_cmp_eq_f32_e64 s[34:35], v42, v22                        // 0000000029E0: D0420022 00022D2A
	v_cmp_eq_f32_e64 s[36:37], v42, v23                        // 0000000029E8: D0420024 00022F2A
	v_cmp_eq_f32_e64 s[38:39], v42, v24                        // 0000000029F0: D0420026 0002312A
	s_ff1_i32_b64 s52, s[32:33]                                // 0000000029F8: BEB41120
	s_ff1_i32_b64 s53, s[34:35]                                // 0000000029FC: BEB51122
	s_ff1_i32_b64 s54, s[36:37]                                // 000000002A00: BEB61124
	s_ff1_i32_b64 s55, s[38:39]                                // 000000002A04: BEB71126
	v_cmp_eq_f32_e64 s[40:41], v43, v25                        // 000000002A08: D0420028 0002332B
	v_cmp_eq_f32_e64 s[42:43], v43, v26                        // 000000002A10: D042002A 0002352B
	v_cmp_eq_f32_e64 s[44:45], v43, v27                        // 000000002A18: D042002C 0002372B
	v_cmp_eq_f32_e64 s[46:47], v43, v28                        // 000000002A20: D042002E 0002392B
	s_ff1_i32_b64 s56, s[40:41]                                // 000000002A28: BEB81128
	s_ff1_i32_b64 s57, s[42:43]                                // 000000002A2C: BEB9112A
	s_ff1_i32_b64 s58, s[44:45]                                // 000000002A30: BEBA112C
	s_ff1_i32_b64 s59, s[46:47]                                // 000000002A34: BEBB112E
	v_readlane_b32 s20, v41, 0                                 // 000000002A38: D2890014 00010129
	v_writelane_b32 v32, s20, 3                                // 000000002A40: D28A0020 00010614
	v_readlane_b32 s21, v42, 0                                 // 000000002A48: D2890015 0001012A
	v_writelane_b32 v33, s21, 3                                // 000000002A50: D28A0021 00010615
	v_readlane_b32 s22, v43, 0                                 // 000000002A58: D2890016 0001012B
	v_writelane_b32 v34, s22, 3                                // 000000002A60: D28A0022 00010616
	s_mov_b32 s22, s48                                         // 000000002A68: BE960030
	s_cmp_eq_u32 s48, -1                                       // 000000002A6C: BF06C130
	s_cselect_b32 s21, 1, 0                                    // 000000002A70: 85158081
	s_cbranch_scc0 label_03AE                                  // 000000002A74: BF840010
	s_add_u32 s75, s21, s75                                    // 000000002A78: 804B4B15
	s_mov_b32 s22, s49                                         // 000000002A7C: BE960031
	s_cmp_eq_u32 s49, -1                                       // 000000002A80: BF06C131
	s_cselect_b32 s21, 1, 0                                    // 000000002A84: 85158081
	s_cbranch_scc0 label_03AE                                  // 000000002A88: BF84000B
	s_add_u32 s75, s21, s75                                    // 000000002A8C: 804B4B15
	s_mov_b32 s22, s50                                         // 000000002A90: BE960032
	s_cmp_eq_u32 s50, -1                                       // 000000002A94: BF06C132
	s_cselect_b32 s21, 1, 0                                    // 000000002A98: 85158081
	s_cbranch_scc0 label_03AE                                  // 000000002A9C: BF840006
	s_add_u32 s75, s21, s75                                    // 000000002AA0: 804B4B15
	s_mov_b32 s22, s51                                         // 000000002AA4: BE960033
	s_cmp_eq_u32 s51, -1                                       // 000000002AA8: BF06C133
	s_cselect_b32 s21, 1, 0                                    // 000000002AAC: 85158081
	s_cbranch_scc0 label_03AE                                  // 000000002AB0: BF840001
	s_add_u32 s75, s21, s75                                    // 000000002AB4: 804B4B15

0000000000002ab8 <label_03AE>:
	s_set_gpr_idx_on s75, gpr_idx(DST)                         // 000000002AB8: BF11084B
	v_writelane_b32 v17, 0, s22                                // 000000002ABC: D28A0011 00002C80
	s_set_gpr_idx_off                                          // 000000002AC4: BF9C0000
	s_mul_i32 s75, 64, s75                                     // 000000002AC8: 924B4BC0
	s_add_u32 s75, s22, s75                                    // 000000002ACC: 804B4B16
	v_writelane_b32 v29, s75, 3                                // 000000002AD0: D28A001D 0001064B
	s_mov_b32 s22, s52                                         // 000000002AD8: BE960034
	s_cmp_eq_u32 s52, -1                                       // 000000002ADC: BF06C134
	s_cselect_b32 s21, 1, 0                                    // 000000002AE0: 85158081
	s_cbranch_scc0 label_03CA                                  // 000000002AE4: BF840010
	s_add_u32 s83, s21, s83                                    // 000000002AE8: 80535315
	s_mov_b32 s22, s53                                         // 000000002AEC: BE960035
	s_cmp_eq_u32 s53, -1                                       // 000000002AF0: BF06C135
	s_cselect_b32 s21, 1, 0                                    // 000000002AF4: 85158081
	s_cbranch_scc0 label_03CA                                  // 000000002AF8: BF84000B
	s_add_u32 s83, s21, s83                                    // 000000002AFC: 80535315
	s_mov_b32 s22, s54                                         // 000000002B00: BE960036
	s_cmp_eq_u32 s54, -1                                       // 000000002B04: BF06C136
	s_cselect_b32 s21, 1, 0                                    // 000000002B08: 85158081
	s_cbranch_scc0 label_03CA                                  // 000000002B0C: BF840006
	s_add_u32 s83, s21, s83                                    // 000000002B10: 80535315
	s_mov_b32 s22, s55                                         // 000000002B14: BE960037
	s_cmp_eq_u32 s55, -1                                       // 000000002B18: BF06C137
	s_cselect_b32 s21, 1, 0                                    // 000000002B1C: 85158081
	s_cbranch_scc0 label_03CA                                  // 000000002B20: BF840001
	s_add_u32 s83, s21, s83                                    // 000000002B24: 80535315

0000000000002b28 <label_03CA>:
	s_set_gpr_idx_on s83, gpr_idx(DST)                         // 000000002B28: BF110853
	v_writelane_b32 v21, 0, s22                                // 000000002B2C: D28A0015 00002C80
	s_set_gpr_idx_off                                          // 000000002B34: BF9C0000
	s_mul_i32 s83, 64, s83                                     // 000000002B38: 925353C0
	s_add_u32 s83, s22, s83                                    // 000000002B3C: 80535316
	v_writelane_b32 v30, s83, 3                                // 000000002B40: D28A001E 00010653
	s_mov_b32 s22, s56                                         // 000000002B48: BE960038
	s_cmp_eq_u32 s56, -1                                       // 000000002B4C: BF06C138
	s_cselect_b32 s21, 1, 0                                    // 000000002B50: 85158081
	s_cbranch_scc0 label_03E6                                  // 000000002B54: BF840010
	s_add_u32 s91, s21, s91                                    // 000000002B58: 805B5B15
	s_mov_b32 s22, s57                                         // 000000002B5C: BE960039
	s_cmp_eq_u32 s57, -1                                       // 000000002B60: BF06C139
	s_cselect_b32 s21, 1, 0                                    // 000000002B64: 85158081
	s_cbranch_scc0 label_03E6                                  // 000000002B68: BF84000B
	s_add_u32 s91, s21, s91                                    // 000000002B6C: 805B5B15
	s_mov_b32 s22, s58                                         // 000000002B70: BE96003A
	s_cmp_eq_u32 s58, -1                                       // 000000002B74: BF06C13A
	s_cselect_b32 s21, 1, 0                                    // 000000002B78: 85158081
	s_cbranch_scc0 label_03E6                                  // 000000002B7C: BF840006
	s_add_u32 s91, s21, s91                                    // 000000002B80: 805B5B15
	s_mov_b32 s22, s59                                         // 000000002B84: BE96003B
	s_cmp_eq_u32 s59, -1                                       // 000000002B88: BF06C13B
	s_cselect_b32 s21, 1, 0                                    // 000000002B8C: 85158081
	s_cbranch_scc0 label_03E6                                  // 000000002B90: BF840001
	s_add_u32 s91, s21, s91                                    // 000000002B94: 805B5B15

0000000000002b98 <label_03E6>:
	s_set_gpr_idx_on s91, gpr_idx(DST)                         // 000000002B98: BF11085B
	v_writelane_b32 v25, 0, s22                                // 000000002B9C: D28A0019 00002C80
	s_set_gpr_idx_off                                          // 000000002BA4: BF9C0000
	s_mul_i32 s91, 64, s91                                     // 000000002BA8: 925B5BC0
	s_add_u32 s91, s22, s91                                    // 000000002BAC: 805B5B16
	v_writelane_b32 v31, s91, 3                                // 000000002BB0: D28A001F 0001065B
	v_max_f32_e32 v41, v17, v18                                // 000000002BB8: 16522511
	v_max3_f32 v41, v41, v19, v20                              // 000000002BBC: D1D30029 04522729
	v_max_f32_e32 v42, v21, v22                                // 000000002BC4: 16542D15
	v_max3_f32 v42, v42, v23, v24                              // 000000002BC8: D1D3002A 04622F2A
	v_max_f32_e32 v43, v25, v26                                // 000000002BD0: 16563519
	v_max3_f32 v43, v43, v27, v28                              // 000000002BD4: D1D3002B 0472372B
	v_max_f32_dpp v4, v41, v41 quad_perm:[1,0,3,2] row_mask:0xf bank_mask:0xf// 000000002BDC: 160852FA FF00B129
	v_max_f32_dpp v5, v42, v42 quad_perm:[1,0,3,2] row_mask:0xf bank_mask:0xf// 000000002BE4: 160A54FA FF00B12A
	v_max_f32_dpp v6, v43, v43 quad_perm:[1,0,3,2] row_mask:0xf bank_mask:0xf// 000000002BEC: 160C56FA FF00B12B
	v_max_f32_dpp v4, v4, v4 quad_perm:[2,3,0,1] row_mask:0xf bank_mask:0xf// 000000002BF4: 160808FA FF004E04
	v_max_f32_dpp v5, v5, v5 quad_perm:[2,3,0,1] row_mask:0xf bank_mask:0xf// 000000002BFC: 160A0AFA FF004E05
	v_max_f32_dpp v6, v6, v6 quad_perm:[2,3,0,1] row_mask:0xf bank_mask:0xf// 000000002C04: 160C0CFA FF004E06
	v_max_f32_dpp v4, v4, v4 row_shr:4 row_mask:0xf bank_mask:0xf// 000000002C0C: 160808FA FF011404
	v_max_f32_dpp v5, v5, v5 row_shr:4 row_mask:0xf bank_mask:0xf// 000000002C14: 160A0AFA FF011405
	v_max_f32_dpp v6, v6, v6 row_shr:4 row_mask:0xf bank_mask:0xf// 000000002C1C: 160C0CFA FF011406
	v_max_f32_dpp v4, v4, v4 row_shr:8 row_mask:0xf bank_mask:0xf// 000000002C24: 160808FA FF011804
	v_max_f32_dpp v5, v5, v5 row_shr:8 row_mask:0xf bank_mask:0xf// 000000002C2C: 160A0AFA FF011805
	v_max_f32_dpp v6, v6, v6 row_shr:8 row_mask:0xf bank_mask:0xf// 000000002C34: 160C0CFA FF011806
	v_max_f32_dpp v4, v4, v4 row_bcast:15 row_mask:0xf bank_mask:0xf// 000000002C3C: 160808FA FF014204
	v_max_f32_dpp v5, v5, v5 row_bcast:15 row_mask:0xf bank_mask:0xf// 000000002C44: 160A0AFA FF014205
	v_max_f32_dpp v6, v6, v6 row_bcast:15 row_mask:0xf bank_mask:0xf// 000000002C4C: 160C0CFA FF014206
	v_max_f32_dpp v4, v4, v4 row_bcast:31 row_mask:0xf bank_mask:0xf// 000000002C54: 160808FA FF014304
	v_max_f32_dpp v5, v5, v5 row_bcast:31 row_mask:0xf bank_mask:0xf// 000000002C5C: 160A0AFA FF014305
	v_max_f32_dpp v6, v6, v6 row_bcast:31 row_mask:0xf bank_mask:0xf// 000000002C64: 160C0CFA FF014306
	v_readlane_b32 s20, v4, 63                                 // 000000002C6C: D2890014 00017F04
	v_mov_b32_e32 v41, s20                                     // 000000002C74: 7E520214
	v_readlane_b32 s21, v5, 63                                 // 000000002C78: D2890015 00017F05
	v_mov_b32_e32 v42, s21                                     // 000000002C80: 7E540215
	v_readlane_b32 s22, v6, 63                                 // 000000002C84: D2890016 00017F06
	v_mov_b32_e32 v43, s22                                     // 000000002C8C: 7E560216
	v_cmp_eq_f32_e64 s[24:25], v41, v17                        // 000000002C90: D0420018 00022329
	v_cmp_eq_f32_e64 s[26:27], v41, v18                        // 000000002C98: D042001A 00022529
	v_cmp_eq_f32_e64 s[28:29], v41, v19                        // 000000002CA0: D042001C 00022729
	v_cmp_eq_f32_e64 s[30:31], v41, v20                        // 000000002CA8: D042001E 00022929
	s_ff1_i32_b64 s48, s[24:25]                                // 000000002CB0: BEB01118
	s_ff1_i32_b64 s49, s[26:27]                                // 000000002CB4: BEB1111A
	s_ff1_i32_b64 s50, s[28:29]                                // 000000002CB8: BEB2111C
	s_ff1_i32_b64 s51, s[30:31]                                // 000000002CBC: BEB3111E
	v_cmp_eq_f32_e64 s[32:33], v42, v21                        // 000000002CC0: D0420020 00022B2A
	v_cmp_eq_f32_e64 s[34:35], v42, v22                        // 000000002CC8: D0420022 00022D2A
	v_cmp_eq_f32_e64 s[36:37], v42, v23                        // 000000002CD0: D0420024 00022F2A
	v_cmp_eq_f32_e64 s[38:39], v42, v24                        // 000000002CD8: D0420026 0002312A
	s_ff1_i32_b64 s52, s[32:33]                                // 000000002CE0: BEB41120
	s_ff1_i32_b64 s53, s[34:35]                                // 000000002CE4: BEB51122
	s_ff1_i32_b64 s54, s[36:37]                                // 000000002CE8: BEB61124
	s_ff1_i32_b64 s55, s[38:39]                                // 000000002CEC: BEB71126
	v_cmp_eq_f32_e64 s[40:41], v43, v25                        // 000000002CF0: D0420028 0002332B
	v_cmp_eq_f32_e64 s[42:43], v43, v26                        // 000000002CF8: D042002A 0002352B
	v_cmp_eq_f32_e64 s[44:45], v43, v27                        // 000000002D00: D042002C 0002372B
	v_cmp_eq_f32_e64 s[46:47], v43, v28                        // 000000002D08: D042002E 0002392B
	s_ff1_i32_b64 s56, s[40:41]                                // 000000002D10: BEB81128
	s_ff1_i32_b64 s57, s[42:43]                                // 000000002D14: BEB9112A
	s_ff1_i32_b64 s58, s[44:45]                                // 000000002D18: BEBA112C
	s_ff1_i32_b64 s59, s[46:47]                                // 000000002D1C: BEBB112E
	v_readlane_b32 s20, v41, 0                                 // 000000002D20: D2890014 00010129
	v_writelane_b32 v32, s20, 4                                // 000000002D28: D28A0020 00010814
	v_readlane_b32 s21, v42, 0                                 // 000000002D30: D2890015 0001012A
	v_writelane_b32 v33, s21, 4                                // 000000002D38: D28A0021 00010815
	v_readlane_b32 s22, v43, 0                                 // 000000002D40: D2890016 0001012B
	v_writelane_b32 v34, s22, 4                                // 000000002D48: D28A0022 00010816
	s_mov_b32 s22, s48                                         // 000000002D50: BE960030
	s_cmp_eq_u32 s48, -1                                       // 000000002D54: BF06C130
	s_cselect_b32 s21, 1, 0                                    // 000000002D58: 85158081
	s_cbranch_scc0 label_0468                                  // 000000002D5C: BF840010
	s_add_u32 s76, s21, s76                                    // 000000002D60: 804C4C15
	s_mov_b32 s22, s49                                         // 000000002D64: BE960031
	s_cmp_eq_u32 s49, -1                                       // 000000002D68: BF06C131
	s_cselect_b32 s21, 1, 0                                    // 000000002D6C: 85158081
	s_cbranch_scc0 label_0468                                  // 000000002D70: BF84000B
	s_add_u32 s76, s21, s76                                    // 000000002D74: 804C4C15
	s_mov_b32 s22, s50                                         // 000000002D78: BE960032
	s_cmp_eq_u32 s50, -1                                       // 000000002D7C: BF06C132
	s_cselect_b32 s21, 1, 0                                    // 000000002D80: 85158081
	s_cbranch_scc0 label_0468                                  // 000000002D84: BF840006
	s_add_u32 s76, s21, s76                                    // 000000002D88: 804C4C15
	s_mov_b32 s22, s51                                         // 000000002D8C: BE960033
	s_cmp_eq_u32 s51, -1                                       // 000000002D90: BF06C133
	s_cselect_b32 s21, 1, 0                                    // 000000002D94: 85158081
	s_cbranch_scc0 label_0468                                  // 000000002D98: BF840001
	s_add_u32 s76, s21, s76                                    // 000000002D9C: 804C4C15

0000000000002da0 <label_0468>:
	s_set_gpr_idx_on s76, gpr_idx(DST)                         // 000000002DA0: BF11084C
	v_writelane_b32 v17, 0, s22                                // 000000002DA4: D28A0011 00002C80
	s_set_gpr_idx_off                                          // 000000002DAC: BF9C0000
	s_mul_i32 s76, 64, s76                                     // 000000002DB0: 924C4CC0
	s_add_u32 s76, s22, s76                                    // 000000002DB4: 804C4C16
	v_writelane_b32 v29, s76, 4                                // 000000002DB8: D28A001D 0001084C
	s_mov_b32 s22, s52                                         // 000000002DC0: BE960034
	s_cmp_eq_u32 s52, -1                                       // 000000002DC4: BF06C134
	s_cselect_b32 s21, 1, 0                                    // 000000002DC8: 85158081
	s_cbranch_scc0 label_0484                                  // 000000002DCC: BF840010
	s_add_u32 s84, s21, s84                                    // 000000002DD0: 80545415
	s_mov_b32 s22, s53                                         // 000000002DD4: BE960035
	s_cmp_eq_u32 s53, -1                                       // 000000002DD8: BF06C135
	s_cselect_b32 s21, 1, 0                                    // 000000002DDC: 85158081
	s_cbranch_scc0 label_0484                                  // 000000002DE0: BF84000B
	s_add_u32 s84, s21, s84                                    // 000000002DE4: 80545415
	s_mov_b32 s22, s54                                         // 000000002DE8: BE960036
	s_cmp_eq_u32 s54, -1                                       // 000000002DEC: BF06C136
	s_cselect_b32 s21, 1, 0                                    // 000000002DF0: 85158081
	s_cbranch_scc0 label_0484                                  // 000000002DF4: BF840006
	s_add_u32 s84, s21, s84                                    // 000000002DF8: 80545415
	s_mov_b32 s22, s55                                         // 000000002DFC: BE960037
	s_cmp_eq_u32 s55, -1                                       // 000000002E00: BF06C137
	s_cselect_b32 s21, 1, 0                                    // 000000002E04: 85158081
	s_cbranch_scc0 label_0484                                  // 000000002E08: BF840001
	s_add_u32 s84, s21, s84                                    // 000000002E0C: 80545415

0000000000002e10 <label_0484>:
	s_set_gpr_idx_on s84, gpr_idx(DST)                         // 000000002E10: BF110854
	v_writelane_b32 v21, 0, s22                                // 000000002E14: D28A0015 00002C80
	s_set_gpr_idx_off                                          // 000000002E1C: BF9C0000
	s_mul_i32 s84, 64, s84                                     // 000000002E20: 925454C0
	s_add_u32 s84, s22, s84                                    // 000000002E24: 80545416
	v_writelane_b32 v30, s84, 4                                // 000000002E28: D28A001E 00010854
	s_mov_b32 s22, s56                                         // 000000002E30: BE960038
	s_cmp_eq_u32 s56, -1                                       // 000000002E34: BF06C138
	s_cselect_b32 s21, 1, 0                                    // 000000002E38: 85158081
	s_cbranch_scc0 label_04A0                                  // 000000002E3C: BF840010
	s_add_u32 s92, s21, s92                                    // 000000002E40: 805C5C15
	s_mov_b32 s22, s57                                         // 000000002E44: BE960039
	s_cmp_eq_u32 s57, -1                                       // 000000002E48: BF06C139
	s_cselect_b32 s21, 1, 0                                    // 000000002E4C: 85158081
	s_cbranch_scc0 label_04A0                                  // 000000002E50: BF84000B
	s_add_u32 s92, s21, s92                                    // 000000002E54: 805C5C15
	s_mov_b32 s22, s58                                         // 000000002E58: BE96003A
	s_cmp_eq_u32 s58, -1                                       // 000000002E5C: BF06C13A
	s_cselect_b32 s21, 1, 0                                    // 000000002E60: 85158081
	s_cbranch_scc0 label_04A0                                  // 000000002E64: BF840006
	s_add_u32 s92, s21, s92                                    // 000000002E68: 805C5C15
	s_mov_b32 s22, s59                                         // 000000002E6C: BE96003B
	s_cmp_eq_u32 s59, -1                                       // 000000002E70: BF06C13B
	s_cselect_b32 s21, 1, 0                                    // 000000002E74: 85158081
	s_cbranch_scc0 label_04A0                                  // 000000002E78: BF840001
	s_add_u32 s92, s21, s92                                    // 000000002E7C: 805C5C15

0000000000002e80 <label_04A0>:
	s_set_gpr_idx_on s92, gpr_idx(DST)                         // 000000002E80: BF11085C
	v_writelane_b32 v25, 0, s22                                // 000000002E84: D28A0019 00002C80
	s_set_gpr_idx_off                                          // 000000002E8C: BF9C0000
	s_mul_i32 s92, 64, s92                                     // 000000002E90: 925C5CC0
	s_add_u32 s92, s22, s92                                    // 000000002E94: 805C5C16
	v_writelane_b32 v31, s92, 4                                // 000000002E98: D28A001F 0001085C
	v_max_f32_e32 v41, v17, v18                                // 000000002EA0: 16522511
	v_max3_f32 v41, v41, v19, v20                              // 000000002EA4: D1D30029 04522729
	v_max_f32_e32 v42, v21, v22                                // 000000002EAC: 16542D15
	v_max3_f32 v42, v42, v23, v24                              // 000000002EB0: D1D3002A 04622F2A
	v_max_f32_e32 v43, v25, v26                                // 000000002EB8: 16563519
	v_max3_f32 v43, v43, v27, v28                              // 000000002EBC: D1D3002B 0472372B
	v_max_f32_dpp v4, v41, v41 quad_perm:[1,0,3,2] row_mask:0xf bank_mask:0xf// 000000002EC4: 160852FA FF00B129
	v_max_f32_dpp v5, v42, v42 quad_perm:[1,0,3,2] row_mask:0xf bank_mask:0xf// 000000002ECC: 160A54FA FF00B12A
	v_max_f32_dpp v6, v43, v43 quad_perm:[1,0,3,2] row_mask:0xf bank_mask:0xf// 000000002ED4: 160C56FA FF00B12B
	v_max_f32_dpp v4, v4, v4 quad_perm:[2,3,0,1] row_mask:0xf bank_mask:0xf// 000000002EDC: 160808FA FF004E04
	v_max_f32_dpp v5, v5, v5 quad_perm:[2,3,0,1] row_mask:0xf bank_mask:0xf// 000000002EE4: 160A0AFA FF004E05
	v_max_f32_dpp v6, v6, v6 quad_perm:[2,3,0,1] row_mask:0xf bank_mask:0xf// 000000002EEC: 160C0CFA FF004E06
	v_max_f32_dpp v4, v4, v4 row_shr:4 row_mask:0xf bank_mask:0xf// 000000002EF4: 160808FA FF011404
	v_max_f32_dpp v5, v5, v5 row_shr:4 row_mask:0xf bank_mask:0xf// 000000002EFC: 160A0AFA FF011405
	v_max_f32_dpp v6, v6, v6 row_shr:4 row_mask:0xf bank_mask:0xf// 000000002F04: 160C0CFA FF011406
	v_max_f32_dpp v4, v4, v4 row_shr:8 row_mask:0xf bank_mask:0xf// 000000002F0C: 160808FA FF011804
	v_max_f32_dpp v5, v5, v5 row_shr:8 row_mask:0xf bank_mask:0xf// 000000002F14: 160A0AFA FF011805
	v_max_f32_dpp v6, v6, v6 row_shr:8 row_mask:0xf bank_mask:0xf// 000000002F1C: 160C0CFA FF011806
	v_max_f32_dpp v4, v4, v4 row_bcast:15 row_mask:0xf bank_mask:0xf// 000000002F24: 160808FA FF014204
	v_max_f32_dpp v5, v5, v5 row_bcast:15 row_mask:0xf bank_mask:0xf// 000000002F2C: 160A0AFA FF014205
	v_max_f32_dpp v6, v6, v6 row_bcast:15 row_mask:0xf bank_mask:0xf// 000000002F34: 160C0CFA FF014206
	v_max_f32_dpp v4, v4, v4 row_bcast:31 row_mask:0xf bank_mask:0xf// 000000002F3C: 160808FA FF014304
	v_max_f32_dpp v5, v5, v5 row_bcast:31 row_mask:0xf bank_mask:0xf// 000000002F44: 160A0AFA FF014305
	v_max_f32_dpp v6, v6, v6 row_bcast:31 row_mask:0xf bank_mask:0xf// 000000002F4C: 160C0CFA FF014306
	v_readlane_b32 s20, v4, 63                                 // 000000002F54: D2890014 00017F04
	v_mov_b32_e32 v41, s20                                     // 000000002F5C: 7E520214
	v_readlane_b32 s21, v5, 63                                 // 000000002F60: D2890015 00017F05
	v_mov_b32_e32 v42, s21                                     // 000000002F68: 7E540215
	v_readlane_b32 s22, v6, 63                                 // 000000002F6C: D2890016 00017F06
	v_mov_b32_e32 v43, s22                                     // 000000002F74: 7E560216
	v_cmp_eq_f32_e64 s[24:25], v41, v17                        // 000000002F78: D0420018 00022329
	v_cmp_eq_f32_e64 s[26:27], v41, v18                        // 000000002F80: D042001A 00022529
	v_cmp_eq_f32_e64 s[28:29], v41, v19                        // 000000002F88: D042001C 00022729
	v_cmp_eq_f32_e64 s[30:31], v41, v20                        // 000000002F90: D042001E 00022929
	s_ff1_i32_b64 s48, s[24:25]                                // 000000002F98: BEB01118
	s_ff1_i32_b64 s49, s[26:27]                                // 000000002F9C: BEB1111A
	s_ff1_i32_b64 s50, s[28:29]                                // 000000002FA0: BEB2111C
	s_ff1_i32_b64 s51, s[30:31]                                // 000000002FA4: BEB3111E
	v_cmp_eq_f32_e64 s[32:33], v42, v21                        // 000000002FA8: D0420020 00022B2A
	v_cmp_eq_f32_e64 s[34:35], v42, v22                        // 000000002FB0: D0420022 00022D2A
	v_cmp_eq_f32_e64 s[36:37], v42, v23                        // 000000002FB8: D0420024 00022F2A
	v_cmp_eq_f32_e64 s[38:39], v42, v24                        // 000000002FC0: D0420026 0002312A
	s_ff1_i32_b64 s52, s[32:33]                                // 000000002FC8: BEB41120
	s_ff1_i32_b64 s53, s[34:35]                                // 000000002FCC: BEB51122
	s_ff1_i32_b64 s54, s[36:37]                                // 000000002FD0: BEB61124
	s_ff1_i32_b64 s55, s[38:39]                                // 000000002FD4: BEB71126
	v_cmp_eq_f32_e64 s[40:41], v43, v25                        // 000000002FD8: D0420028 0002332B
	v_cmp_eq_f32_e64 s[42:43], v43, v26                        // 000000002FE0: D042002A 0002352B
	v_cmp_eq_f32_e64 s[44:45], v43, v27                        // 000000002FE8: D042002C 0002372B
	v_cmp_eq_f32_e64 s[46:47], v43, v28                        // 000000002FF0: D042002E 0002392B
	s_ff1_i32_b64 s56, s[40:41]                                // 000000002FF8: BEB81128
	s_ff1_i32_b64 s57, s[42:43]                                // 000000002FFC: BEB9112A
	s_ff1_i32_b64 s58, s[44:45]                                // 000000003000: BEBA112C
	s_ff1_i32_b64 s59, s[46:47]                                // 000000003004: BEBB112E
	v_readlane_b32 s20, v41, 0                                 // 000000003008: D2890014 00010129
	v_writelane_b32 v32, s20, 5                                // 000000003010: D28A0020 00010A14
	v_readlane_b32 s21, v42, 0                                 // 000000003018: D2890015 0001012A
	v_writelane_b32 v33, s21, 5                                // 000000003020: D28A0021 00010A15
	v_readlane_b32 s22, v43, 0                                 // 000000003028: D2890016 0001012B
	v_writelane_b32 v34, s22, 5                                // 000000003030: D28A0022 00010A16
	s_mov_b32 s22, s48                                         // 000000003038: BE960030
	s_cmp_eq_u32 s48, -1                                       // 00000000303C: BF06C130
	s_cselect_b32 s21, 1, 0                                    // 000000003040: 85158081
	s_cbranch_scc0 label_0522                                  // 000000003044: BF840010
	s_add_u32 s77, s21, s77                                    // 000000003048: 804D4D15
	s_mov_b32 s22, s49                                         // 00000000304C: BE960031
	s_cmp_eq_u32 s49, -1                                       // 000000003050: BF06C131
	s_cselect_b32 s21, 1, 0                                    // 000000003054: 85158081
	s_cbranch_scc0 label_0522                                  // 000000003058: BF84000B
	s_add_u32 s77, s21, s77                                    // 00000000305C: 804D4D15
	s_mov_b32 s22, s50                                         // 000000003060: BE960032
	s_cmp_eq_u32 s50, -1                                       // 000000003064: BF06C132
	s_cselect_b32 s21, 1, 0                                    // 000000003068: 85158081
	s_cbranch_scc0 label_0522                                  // 00000000306C: BF840006
	s_add_u32 s77, s21, s77                                    // 000000003070: 804D4D15
	s_mov_b32 s22, s51                                         // 000000003074: BE960033
	s_cmp_eq_u32 s51, -1                                       // 000000003078: BF06C133
	s_cselect_b32 s21, 1, 0                                    // 00000000307C: 85158081
	s_cbranch_scc0 label_0522                                  // 000000003080: BF840001
	s_add_u32 s77, s21, s77                                    // 000000003084: 804D4D15

0000000000003088 <label_0522>:
	s_set_gpr_idx_on s77, gpr_idx(DST)                         // 000000003088: BF11084D
	v_writelane_b32 v17, 0, s22                                // 00000000308C: D28A0011 00002C80
	s_set_gpr_idx_off                                          // 000000003094: BF9C0000
	s_mul_i32 s77, 64, s77                                     // 000000003098: 924D4DC0
	s_add_u32 s77, s22, s77                                    // 00000000309C: 804D4D16
	v_writelane_b32 v29, s77, 5                                // 0000000030A0: D28A001D 00010A4D
	s_mov_b32 s22, s52                                         // 0000000030A8: BE960034
	s_cmp_eq_u32 s52, -1                                       // 0000000030AC: BF06C134
	s_cselect_b32 s21, 1, 0                                    // 0000000030B0: 85158081
	s_cbranch_scc0 label_053E                                  // 0000000030B4: BF840010
	s_add_u32 s85, s21, s85                                    // 0000000030B8: 80555515
	s_mov_b32 s22, s53                                         // 0000000030BC: BE960035
	s_cmp_eq_u32 s53, -1                                       // 0000000030C0: BF06C135
	s_cselect_b32 s21, 1, 0                                    // 0000000030C4: 85158081
	s_cbranch_scc0 label_053E                                  // 0000000030C8: BF84000B
	s_add_u32 s85, s21, s85                                    // 0000000030CC: 80555515
	s_mov_b32 s22, s54                                         // 0000000030D0: BE960036
	s_cmp_eq_u32 s54, -1                                       // 0000000030D4: BF06C136
	s_cselect_b32 s21, 1, 0                                    // 0000000030D8: 85158081
	s_cbranch_scc0 label_053E                                  // 0000000030DC: BF840006
	s_add_u32 s85, s21, s85                                    // 0000000030E0: 80555515
	s_mov_b32 s22, s55                                         // 0000000030E4: BE960037
	s_cmp_eq_u32 s55, -1                                       // 0000000030E8: BF06C137
	s_cselect_b32 s21, 1, 0                                    // 0000000030EC: 85158081
	s_cbranch_scc0 label_053E                                  // 0000000030F0: BF840001
	s_add_u32 s85, s21, s85                                    // 0000000030F4: 80555515

00000000000030f8 <label_053E>:
	s_set_gpr_idx_on s85, gpr_idx(DST)                         // 0000000030F8: BF110855
	v_writelane_b32 v21, 0, s22                                // 0000000030FC: D28A0015 00002C80
	s_set_gpr_idx_off                                          // 000000003104: BF9C0000
	s_mul_i32 s85, 64, s85                                     // 000000003108: 925555C0
	s_add_u32 s85, s22, s85                                    // 00000000310C: 80555516
	v_writelane_b32 v30, s85, 5                                // 000000003110: D28A001E 00010A55
	s_mov_b32 s22, s56                                         // 000000003118: BE960038
	s_cmp_eq_u32 s56, -1                                       // 00000000311C: BF06C138
	s_cselect_b32 s21, 1, 0                                    // 000000003120: 85158081
	s_cbranch_scc0 label_055A                                  // 000000003124: BF840010
	s_add_u32 s93, s21, s93                                    // 000000003128: 805D5D15
	s_mov_b32 s22, s57                                         // 00000000312C: BE960039
	s_cmp_eq_u32 s57, -1                                       // 000000003130: BF06C139
	s_cselect_b32 s21, 1, 0                                    // 000000003134: 85158081
	s_cbranch_scc0 label_055A                                  // 000000003138: BF84000B
	s_add_u32 s93, s21, s93                                    // 00000000313C: 805D5D15
	s_mov_b32 s22, s58                                         // 000000003140: BE96003A
	s_cmp_eq_u32 s58, -1                                       // 000000003144: BF06C13A
	s_cselect_b32 s21, 1, 0                                    // 000000003148: 85158081
	s_cbranch_scc0 label_055A                                  // 00000000314C: BF840006
	s_add_u32 s93, s21, s93                                    // 000000003150: 805D5D15
	s_mov_b32 s22, s59                                         // 000000003154: BE96003B
	s_cmp_eq_u32 s59, -1                                       // 000000003158: BF06C13B
	s_cselect_b32 s21, 1, 0                                    // 00000000315C: 85158081
	s_cbranch_scc0 label_055A                                  // 000000003160: BF840001
	s_add_u32 s93, s21, s93                                    // 000000003164: 805D5D15

0000000000003168 <label_055A>:
	s_set_gpr_idx_on s93, gpr_idx(DST)                         // 000000003168: BF11085D
	v_writelane_b32 v25, 0, s22                                // 00000000316C: D28A0019 00002C80
	s_set_gpr_idx_off                                          // 000000003174: BF9C0000
	s_mul_i32 s93, 64, s93                                     // 000000003178: 925D5DC0
	s_add_u32 s93, s22, s93                                    // 00000000317C: 805D5D16
	v_writelane_b32 v31, s93, 5                                // 000000003180: D28A001F 00010A5D
	v_max_f32_e32 v41, v17, v18                                // 000000003188: 16522511
	v_max3_f32 v41, v41, v19, v20                              // 00000000318C: D1D30029 04522729
	v_max_f32_e32 v42, v21, v22                                // 000000003194: 16542D15
	v_max3_f32 v42, v42, v23, v24                              // 000000003198: D1D3002A 04622F2A
	v_max_f32_e32 v43, v25, v26                                // 0000000031A0: 16563519
	v_max3_f32 v43, v43, v27, v28                              // 0000000031A4: D1D3002B 0472372B
	v_max_f32_dpp v4, v41, v41 quad_perm:[1,0,3,2] row_mask:0xf bank_mask:0xf// 0000000031AC: 160852FA FF00B129
	v_max_f32_dpp v5, v42, v42 quad_perm:[1,0,3,2] row_mask:0xf bank_mask:0xf// 0000000031B4: 160A54FA FF00B12A
	v_max_f32_dpp v6, v43, v43 quad_perm:[1,0,3,2] row_mask:0xf bank_mask:0xf// 0000000031BC: 160C56FA FF00B12B
	v_max_f32_dpp v4, v4, v4 quad_perm:[2,3,0,1] row_mask:0xf bank_mask:0xf// 0000000031C4: 160808FA FF004E04
	v_max_f32_dpp v5, v5, v5 quad_perm:[2,3,0,1] row_mask:0xf bank_mask:0xf// 0000000031CC: 160A0AFA FF004E05
	v_max_f32_dpp v6, v6, v6 quad_perm:[2,3,0,1] row_mask:0xf bank_mask:0xf// 0000000031D4: 160C0CFA FF004E06
	v_max_f32_dpp v4, v4, v4 row_shr:4 row_mask:0xf bank_mask:0xf// 0000000031DC: 160808FA FF011404
	v_max_f32_dpp v5, v5, v5 row_shr:4 row_mask:0xf bank_mask:0xf// 0000000031E4: 160A0AFA FF011405
	v_max_f32_dpp v6, v6, v6 row_shr:4 row_mask:0xf bank_mask:0xf// 0000000031EC: 160C0CFA FF011406
	v_max_f32_dpp v4, v4, v4 row_shr:8 row_mask:0xf bank_mask:0xf// 0000000031F4: 160808FA FF011804
	v_max_f32_dpp v5, v5, v5 row_shr:8 row_mask:0xf bank_mask:0xf// 0000000031FC: 160A0AFA FF011805
	v_max_f32_dpp v6, v6, v6 row_shr:8 row_mask:0xf bank_mask:0xf// 000000003204: 160C0CFA FF011806
	v_max_f32_dpp v4, v4, v4 row_bcast:15 row_mask:0xf bank_mask:0xf// 00000000320C: 160808FA FF014204
	v_max_f32_dpp v5, v5, v5 row_bcast:15 row_mask:0xf bank_mask:0xf// 000000003214: 160A0AFA FF014205
	v_max_f32_dpp v6, v6, v6 row_bcast:15 row_mask:0xf bank_mask:0xf// 00000000321C: 160C0CFA FF014206
	v_max_f32_dpp v4, v4, v4 row_bcast:31 row_mask:0xf bank_mask:0xf// 000000003224: 160808FA FF014304
	v_max_f32_dpp v5, v5, v5 row_bcast:31 row_mask:0xf bank_mask:0xf// 00000000322C: 160A0AFA FF014305
	v_max_f32_dpp v6, v6, v6 row_bcast:31 row_mask:0xf bank_mask:0xf// 000000003234: 160C0CFA FF014306
	v_readlane_b32 s20, v4, 63                                 // 00000000323C: D2890014 00017F04
	v_mov_b32_e32 v41, s20                                     // 000000003244: 7E520214
	v_readlane_b32 s21, v5, 63                                 // 000000003248: D2890015 00017F05
	v_mov_b32_e32 v42, s21                                     // 000000003250: 7E540215
	v_readlane_b32 s22, v6, 63                                 // 000000003254: D2890016 00017F06
	v_mov_b32_e32 v43, s22                                     // 00000000325C: 7E560216
	v_cmp_eq_f32_e64 s[24:25], v41, v17                        // 000000003260: D0420018 00022329
	v_cmp_eq_f32_e64 s[26:27], v41, v18                        // 000000003268: D042001A 00022529
	v_cmp_eq_f32_e64 s[28:29], v41, v19                        // 000000003270: D042001C 00022729
	v_cmp_eq_f32_e64 s[30:31], v41, v20                        // 000000003278: D042001E 00022929
	s_ff1_i32_b64 s48, s[24:25]                                // 000000003280: BEB01118
	s_ff1_i32_b64 s49, s[26:27]                                // 000000003284: BEB1111A
	s_ff1_i32_b64 s50, s[28:29]                                // 000000003288: BEB2111C
	s_ff1_i32_b64 s51, s[30:31]                                // 00000000328C: BEB3111E
	v_cmp_eq_f32_e64 s[32:33], v42, v21                        // 000000003290: D0420020 00022B2A
	v_cmp_eq_f32_e64 s[34:35], v42, v22                        // 000000003298: D0420022 00022D2A
	v_cmp_eq_f32_e64 s[36:37], v42, v23                        // 0000000032A0: D0420024 00022F2A
	v_cmp_eq_f32_e64 s[38:39], v42, v24                        // 0000000032A8: D0420026 0002312A
	s_ff1_i32_b64 s52, s[32:33]                                // 0000000032B0: BEB41120
	s_ff1_i32_b64 s53, s[34:35]                                // 0000000032B4: BEB51122
	s_ff1_i32_b64 s54, s[36:37]                                // 0000000032B8: BEB61124
	s_ff1_i32_b64 s55, s[38:39]                                // 0000000032BC: BEB71126
	v_cmp_eq_f32_e64 s[40:41], v43, v25                        // 0000000032C0: D0420028 0002332B
	v_cmp_eq_f32_e64 s[42:43], v43, v26                        // 0000000032C8: D042002A 0002352B
	v_cmp_eq_f32_e64 s[44:45], v43, v27                        // 0000000032D0: D042002C 0002372B
	v_cmp_eq_f32_e64 s[46:47], v43, v28                        // 0000000032D8: D042002E 0002392B
	s_ff1_i32_b64 s56, s[40:41]                                // 0000000032E0: BEB81128
	s_ff1_i32_b64 s57, s[42:43]                                // 0000000032E4: BEB9112A
	s_ff1_i32_b64 s58, s[44:45]                                // 0000000032E8: BEBA112C
	s_ff1_i32_b64 s59, s[46:47]                                // 0000000032EC: BEBB112E
	v_readlane_b32 s20, v41, 0                                 // 0000000032F0: D2890014 00010129
	v_writelane_b32 v32, s20, 6                                // 0000000032F8: D28A0020 00010C14
	v_readlane_b32 s21, v42, 0                                 // 000000003300: D2890015 0001012A
	v_writelane_b32 v33, s21, 6                                // 000000003308: D28A0021 00010C15
	v_readlane_b32 s22, v43, 0                                 // 000000003310: D2890016 0001012B
	v_writelane_b32 v34, s22, 6                                // 000000003318: D28A0022 00010C16
	s_mov_b32 s22, s48                                         // 000000003320: BE960030
	s_cmp_eq_u32 s48, -1                                       // 000000003324: BF06C130
	s_cselect_b32 s21, 1, 0                                    // 000000003328: 85158081
	s_cbranch_scc0 label_05DC                                  // 00000000332C: BF840010
	s_add_u32 s78, s21, s78                                    // 000000003330: 804E4E15
	s_mov_b32 s22, s49                                         // 000000003334: BE960031
	s_cmp_eq_u32 s49, -1                                       // 000000003338: BF06C131
	s_cselect_b32 s21, 1, 0                                    // 00000000333C: 85158081
	s_cbranch_scc0 label_05DC                                  // 000000003340: BF84000B
	s_add_u32 s78, s21, s78                                    // 000000003344: 804E4E15
	s_mov_b32 s22, s50                                         // 000000003348: BE960032
	s_cmp_eq_u32 s50, -1                                       // 00000000334C: BF06C132
	s_cselect_b32 s21, 1, 0                                    // 000000003350: 85158081
	s_cbranch_scc0 label_05DC                                  // 000000003354: BF840006
	s_add_u32 s78, s21, s78                                    // 000000003358: 804E4E15
	s_mov_b32 s22, s51                                         // 00000000335C: BE960033
	s_cmp_eq_u32 s51, -1                                       // 000000003360: BF06C133
	s_cselect_b32 s21, 1, 0                                    // 000000003364: 85158081
	s_cbranch_scc0 label_05DC                                  // 000000003368: BF840001
	s_add_u32 s78, s21, s78                                    // 00000000336C: 804E4E15

0000000000003370 <label_05DC>:
	s_set_gpr_idx_on s78, gpr_idx(DST)                         // 000000003370: BF11084E
	v_writelane_b32 v17, 0, s22                                // 000000003374: D28A0011 00002C80
	s_set_gpr_idx_off                                          // 00000000337C: BF9C0000
	s_mul_i32 s78, 64, s78                                     // 000000003380: 924E4EC0
	s_add_u32 s78, s22, s78                                    // 000000003384: 804E4E16
	v_writelane_b32 v29, s78, 6                                // 000000003388: D28A001D 00010C4E
	s_mov_b32 s22, s52                                         // 000000003390: BE960034
	s_cmp_eq_u32 s52, -1                                       // 000000003394: BF06C134
	s_cselect_b32 s21, 1, 0                                    // 000000003398: 85158081
	s_cbranch_scc0 label_05F8                                  // 00000000339C: BF840010
	s_add_u32 s86, s21, s86                                    // 0000000033A0: 80565615
	s_mov_b32 s22, s53                                         // 0000000033A4: BE960035
	s_cmp_eq_u32 s53, -1                                       // 0000000033A8: BF06C135
	s_cselect_b32 s21, 1, 0                                    // 0000000033AC: 85158081
	s_cbranch_scc0 label_05F8                                  // 0000000033B0: BF84000B
	s_add_u32 s86, s21, s86                                    // 0000000033B4: 80565615
	s_mov_b32 s22, s54                                         // 0000000033B8: BE960036
	s_cmp_eq_u32 s54, -1                                       // 0000000033BC: BF06C136
	s_cselect_b32 s21, 1, 0                                    // 0000000033C0: 85158081
	s_cbranch_scc0 label_05F8                                  // 0000000033C4: BF840006
	s_add_u32 s86, s21, s86                                    // 0000000033C8: 80565615
	s_mov_b32 s22, s55                                         // 0000000033CC: BE960037
	s_cmp_eq_u32 s55, -1                                       // 0000000033D0: BF06C137
	s_cselect_b32 s21, 1, 0                                    // 0000000033D4: 85158081
	s_cbranch_scc0 label_05F8                                  // 0000000033D8: BF840001
	s_add_u32 s86, s21, s86                                    // 0000000033DC: 80565615

00000000000033e0 <label_05F8>:
	s_set_gpr_idx_on s86, gpr_idx(DST)                         // 0000000033E0: BF110856
	v_writelane_b32 v21, 0, s22                                // 0000000033E4: D28A0015 00002C80
	s_set_gpr_idx_off                                          // 0000000033EC: BF9C0000
	s_mul_i32 s86, 64, s86                                     // 0000000033F0: 925656C0
	s_add_u32 s86, s22, s86                                    // 0000000033F4: 80565616
	v_writelane_b32 v30, s86, 6                                // 0000000033F8: D28A001E 00010C56
	s_mov_b32 s22, s56                                         // 000000003400: BE960038
	s_cmp_eq_u32 s56, -1                                       // 000000003404: BF06C138
	s_cselect_b32 s21, 1, 0                                    // 000000003408: 85158081
	s_cbranch_scc0 label_0614                                  // 00000000340C: BF840010
	s_add_u32 s94, s21, s94                                    // 000000003410: 805E5E15
	s_mov_b32 s22, s57                                         // 000000003414: BE960039
	s_cmp_eq_u32 s57, -1                                       // 000000003418: BF06C139
	s_cselect_b32 s21, 1, 0                                    // 00000000341C: 85158081
	s_cbranch_scc0 label_0614                                  // 000000003420: BF84000B
	s_add_u32 s94, s21, s94                                    // 000000003424: 805E5E15
	s_mov_b32 s22, s58                                         // 000000003428: BE96003A
	s_cmp_eq_u32 s58, -1                                       // 00000000342C: BF06C13A
	s_cselect_b32 s21, 1, 0                                    // 000000003430: 85158081
	s_cbranch_scc0 label_0614                                  // 000000003434: BF840006
	s_add_u32 s94, s21, s94                                    // 000000003438: 805E5E15
	s_mov_b32 s22, s59                                         // 00000000343C: BE96003B
	s_cmp_eq_u32 s59, -1                                       // 000000003440: BF06C13B
	s_cselect_b32 s21, 1, 0                                    // 000000003444: 85158081
	s_cbranch_scc0 label_0614                                  // 000000003448: BF840001
	s_add_u32 s94, s21, s94                                    // 00000000344C: 805E5E15

0000000000003450 <label_0614>:
	s_set_gpr_idx_on s94, gpr_idx(DST)                         // 000000003450: BF11085E
	v_writelane_b32 v25, 0, s22                                // 000000003454: D28A0019 00002C80
	s_set_gpr_idx_off                                          // 00000000345C: BF9C0000
	s_mul_i32 s94, 64, s94                                     // 000000003460: 925E5EC0
	s_add_u32 s94, s22, s94                                    // 000000003464: 805E5E16
	v_writelane_b32 v31, s94, 6                                // 000000003468: D28A001F 00010C5E
	v_max_f32_e32 v41, v17, v18                                // 000000003470: 16522511
	v_max3_f32 v41, v41, v19, v20                              // 000000003474: D1D30029 04522729
	v_max_f32_e32 v42, v21, v22                                // 00000000347C: 16542D15
	v_max3_f32 v42, v42, v23, v24                              // 000000003480: D1D3002A 04622F2A
	v_max_f32_e32 v43, v25, v26                                // 000000003488: 16563519
	v_max3_f32 v43, v43, v27, v28                              // 00000000348C: D1D3002B 0472372B
	v_max_f32_dpp v4, v41, v41 quad_perm:[1,0,3,2] row_mask:0xf bank_mask:0xf// 000000003494: 160852FA FF00B129
	v_max_f32_dpp v5, v42, v42 quad_perm:[1,0,3,2] row_mask:0xf bank_mask:0xf// 00000000349C: 160A54FA FF00B12A
	v_max_f32_dpp v6, v43, v43 quad_perm:[1,0,3,2] row_mask:0xf bank_mask:0xf// 0000000034A4: 160C56FA FF00B12B
	v_max_f32_dpp v4, v4, v4 quad_perm:[2,3,0,1] row_mask:0xf bank_mask:0xf// 0000000034AC: 160808FA FF004E04
	v_max_f32_dpp v5, v5, v5 quad_perm:[2,3,0,1] row_mask:0xf bank_mask:0xf// 0000000034B4: 160A0AFA FF004E05
	v_max_f32_dpp v6, v6, v6 quad_perm:[2,3,0,1] row_mask:0xf bank_mask:0xf// 0000000034BC: 160C0CFA FF004E06
	v_max_f32_dpp v4, v4, v4 row_shr:4 row_mask:0xf bank_mask:0xf// 0000000034C4: 160808FA FF011404
	v_max_f32_dpp v5, v5, v5 row_shr:4 row_mask:0xf bank_mask:0xf// 0000000034CC: 160A0AFA FF011405
	v_max_f32_dpp v6, v6, v6 row_shr:4 row_mask:0xf bank_mask:0xf// 0000000034D4: 160C0CFA FF011406
	v_max_f32_dpp v4, v4, v4 row_shr:8 row_mask:0xf bank_mask:0xf// 0000000034DC: 160808FA FF011804
	v_max_f32_dpp v5, v5, v5 row_shr:8 row_mask:0xf bank_mask:0xf// 0000000034E4: 160A0AFA FF011805
	v_max_f32_dpp v6, v6, v6 row_shr:8 row_mask:0xf bank_mask:0xf// 0000000034EC: 160C0CFA FF011806
	v_max_f32_dpp v4, v4, v4 row_bcast:15 row_mask:0xf bank_mask:0xf// 0000000034F4: 160808FA FF014204
	v_max_f32_dpp v5, v5, v5 row_bcast:15 row_mask:0xf bank_mask:0xf// 0000000034FC: 160A0AFA FF014205
	v_max_f32_dpp v6, v6, v6 row_bcast:15 row_mask:0xf bank_mask:0xf// 000000003504: 160C0CFA FF014206
	v_max_f32_dpp v4, v4, v4 row_bcast:31 row_mask:0xf bank_mask:0xf// 00000000350C: 160808FA FF014304
	v_max_f32_dpp v5, v5, v5 row_bcast:31 row_mask:0xf bank_mask:0xf// 000000003514: 160A0AFA FF014305
	v_max_f32_dpp v6, v6, v6 row_bcast:31 row_mask:0xf bank_mask:0xf// 00000000351C: 160C0CFA FF014306
	v_readlane_b32 s20, v4, 63                                 // 000000003524: D2890014 00017F04
	v_mov_b32_e32 v41, s20                                     // 00000000352C: 7E520214
	v_readlane_b32 s21, v5, 63                                 // 000000003530: D2890015 00017F05
	v_mov_b32_e32 v42, s21                                     // 000000003538: 7E540215
	v_readlane_b32 s22, v6, 63                                 // 00000000353C: D2890016 00017F06
	v_mov_b32_e32 v43, s22                                     // 000000003544: 7E560216
	v_cmp_eq_f32_e64 s[24:25], v41, v17                        // 000000003548: D0420018 00022329
	v_cmp_eq_f32_e64 s[26:27], v41, v18                        // 000000003550: D042001A 00022529
	v_cmp_eq_f32_e64 s[28:29], v41, v19                        // 000000003558: D042001C 00022729
	v_cmp_eq_f32_e64 s[30:31], v41, v20                        // 000000003560: D042001E 00022929
	s_ff1_i32_b64 s48, s[24:25]                                // 000000003568: BEB01118
	s_ff1_i32_b64 s49, s[26:27]                                // 00000000356C: BEB1111A
	s_ff1_i32_b64 s50, s[28:29]                                // 000000003570: BEB2111C
	s_ff1_i32_b64 s51, s[30:31]                                // 000000003574: BEB3111E
	v_cmp_eq_f32_e64 s[32:33], v42, v21                        // 000000003578: D0420020 00022B2A
	v_cmp_eq_f32_e64 s[34:35], v42, v22                        // 000000003580: D0420022 00022D2A
	v_cmp_eq_f32_e64 s[36:37], v42, v23                        // 000000003588: D0420024 00022F2A
	v_cmp_eq_f32_e64 s[38:39], v42, v24                        // 000000003590: D0420026 0002312A
	s_ff1_i32_b64 s52, s[32:33]                                // 000000003598: BEB41120
	s_ff1_i32_b64 s53, s[34:35]                                // 00000000359C: BEB51122
	s_ff1_i32_b64 s54, s[36:37]                                // 0000000035A0: BEB61124
	s_ff1_i32_b64 s55, s[38:39]                                // 0000000035A4: BEB71126
	v_cmp_eq_f32_e64 s[40:41], v43, v25                        // 0000000035A8: D0420028 0002332B
	v_cmp_eq_f32_e64 s[42:43], v43, v26                        // 0000000035B0: D042002A 0002352B
	v_cmp_eq_f32_e64 s[44:45], v43, v27                        // 0000000035B8: D042002C 0002372B
	v_cmp_eq_f32_e64 s[46:47], v43, v28                        // 0000000035C0: D042002E 0002392B
	s_ff1_i32_b64 s56, s[40:41]                                // 0000000035C8: BEB81128
	s_ff1_i32_b64 s57, s[42:43]                                // 0000000035CC: BEB9112A
	s_ff1_i32_b64 s58, s[44:45]                                // 0000000035D0: BEBA112C
	s_ff1_i32_b64 s59, s[46:47]                                // 0000000035D4: BEBB112E
	v_readlane_b32 s20, v41, 0                                 // 0000000035D8: D2890014 00010129
	v_writelane_b32 v32, s20, 7                                // 0000000035E0: D28A0020 00010E14
	v_readlane_b32 s21, v42, 0                                 // 0000000035E8: D2890015 0001012A
	v_writelane_b32 v33, s21, 7                                // 0000000035F0: D28A0021 00010E15
	v_readlane_b32 s22, v43, 0                                 // 0000000035F8: D2890016 0001012B
	v_writelane_b32 v34, s22, 7                                // 000000003600: D28A0022 00010E16
	s_mov_b32 s22, s48                                         // 000000003608: BE960030
	s_cmp_eq_u32 s48, -1                                       // 00000000360C: BF06C130
	s_cselect_b32 s21, 1, 0                                    // 000000003610: 85158081
	s_cbranch_scc0 label_0696                                  // 000000003614: BF840010
	s_add_u32 s79, s21, s79                                    // 000000003618: 804F4F15
	s_mov_b32 s22, s49                                         // 00000000361C: BE960031
	s_cmp_eq_u32 s49, -1                                       // 000000003620: BF06C131
	s_cselect_b32 s21, 1, 0                                    // 000000003624: 85158081
	s_cbranch_scc0 label_0696                                  // 000000003628: BF84000B
	s_add_u32 s79, s21, s79                                    // 00000000362C: 804F4F15
	s_mov_b32 s22, s50                                         // 000000003630: BE960032
	s_cmp_eq_u32 s50, -1                                       // 000000003634: BF06C132
	s_cselect_b32 s21, 1, 0                                    // 000000003638: 85158081
	s_cbranch_scc0 label_0696                                  // 00000000363C: BF840006
	s_add_u32 s79, s21, s79                                    // 000000003640: 804F4F15
	s_mov_b32 s22, s51                                         // 000000003644: BE960033
	s_cmp_eq_u32 s51, -1                                       // 000000003648: BF06C133
	s_cselect_b32 s21, 1, 0                                    // 00000000364C: 85158081
	s_cbranch_scc0 label_0696                                  // 000000003650: BF840001
	s_add_u32 s79, s21, s79                                    // 000000003654: 804F4F15

0000000000003658 <label_0696>:
	s_set_gpr_idx_on s79, gpr_idx(DST)                         // 000000003658: BF11084F
	v_writelane_b32 v17, 0, s22                                // 00000000365C: D28A0011 00002C80
	s_set_gpr_idx_off                                          // 000000003664: BF9C0000
	s_mul_i32 s79, 64, s79                                     // 000000003668: 924F4FC0
	s_add_u32 s79, s22, s79                                    // 00000000366C: 804F4F16
	v_writelane_b32 v29, s79, 7                                // 000000003670: D28A001D 00010E4F
	s_mov_b32 s22, s52                                         // 000000003678: BE960034
	s_cmp_eq_u32 s52, -1                                       // 00000000367C: BF06C134
	s_cselect_b32 s21, 1, 0                                    // 000000003680: 85158081
	s_cbranch_scc0 label_06B2                                  // 000000003684: BF840010
	s_add_u32 s87, s21, s87                                    // 000000003688: 80575715
	s_mov_b32 s22, s53                                         // 00000000368C: BE960035
	s_cmp_eq_u32 s53, -1                                       // 000000003690: BF06C135
	s_cselect_b32 s21, 1, 0                                    // 000000003694: 85158081
	s_cbranch_scc0 label_06B2                                  // 000000003698: BF84000B
	s_add_u32 s87, s21, s87                                    // 00000000369C: 80575715
	s_mov_b32 s22, s54                                         // 0000000036A0: BE960036
	s_cmp_eq_u32 s54, -1                                       // 0000000036A4: BF06C136
	s_cselect_b32 s21, 1, 0                                    // 0000000036A8: 85158081
	s_cbranch_scc0 label_06B2                                  // 0000000036AC: BF840006
	s_add_u32 s87, s21, s87                                    // 0000000036B0: 80575715
	s_mov_b32 s22, s55                                         // 0000000036B4: BE960037
	s_cmp_eq_u32 s55, -1                                       // 0000000036B8: BF06C137
	s_cselect_b32 s21, 1, 0                                    // 0000000036BC: 85158081
	s_cbranch_scc0 label_06B2                                  // 0000000036C0: BF840001
	s_add_u32 s87, s21, s87                                    // 0000000036C4: 80575715

00000000000036c8 <label_06B2>:
	s_set_gpr_idx_on s87, gpr_idx(DST)                         // 0000000036C8: BF110857
	v_writelane_b32 v21, 0, s22                                // 0000000036CC: D28A0015 00002C80
	s_set_gpr_idx_off                                          // 0000000036D4: BF9C0000
	s_mul_i32 s87, 64, s87                                     // 0000000036D8: 925757C0
	s_add_u32 s87, s22, s87                                    // 0000000036DC: 80575716
	v_writelane_b32 v30, s87, 7                                // 0000000036E0: D28A001E 00010E57
	s_mov_b32 s22, s56                                         // 0000000036E8: BE960038
	s_cmp_eq_u32 s56, -1                                       // 0000000036EC: BF06C138
	s_cselect_b32 s21, 1, 0                                    // 0000000036F0: 85158081
	s_cbranch_scc0 label_06CE                                  // 0000000036F4: BF840010
	s_add_u32 s95, s21, s95                                    // 0000000036F8: 805F5F15
	s_mov_b32 s22, s57                                         // 0000000036FC: BE960039
	s_cmp_eq_u32 s57, -1                                       // 000000003700: BF06C139
	s_cselect_b32 s21, 1, 0                                    // 000000003704: 85158081
	s_cbranch_scc0 label_06CE                                  // 000000003708: BF84000B
	s_add_u32 s95, s21, s95                                    // 00000000370C: 805F5F15
	s_mov_b32 s22, s58                                         // 000000003710: BE96003A
	s_cmp_eq_u32 s58, -1                                       // 000000003714: BF06C13A
	s_cselect_b32 s21, 1, 0                                    // 000000003718: 85158081
	s_cbranch_scc0 label_06CE                                  // 00000000371C: BF840006
	s_add_u32 s95, s21, s95                                    // 000000003720: 805F5F15
	s_mov_b32 s22, s59                                         // 000000003724: BE96003B
	s_cmp_eq_u32 s59, -1                                       // 000000003728: BF06C13B
	s_cselect_b32 s21, 1, 0                                    // 00000000372C: 85158081
	s_cbranch_scc0 label_06CE                                  // 000000003730: BF840001
	s_add_u32 s95, s21, s95                                    // 000000003734: 805F5F15

0000000000003738 <label_06CE>:
	s_set_gpr_idx_on s95, gpr_idx(DST)                         // 000000003738: BF11085F
	v_writelane_b32 v25, 0, s22                                // 00000000373C: D28A0019 00002C80
	s_set_gpr_idx_off                                          // 000000003744: BF9C0000
	s_mul_i32 s95, 64, s95                                     // 000000003748: 925F5FC0
	s_add_u32 s95, s22, s95                                    // 00000000374C: 805F5F16
	v_writelane_b32 v31, s95, 7                                // 000000003750: D28A001F 00010E5F
	s_bfm_b64 exec, s18, 0                                     // 000000003758: 91FE8012
	buffer_store_dword v29, v11, s[4:7], 0 offen               // 00000000375C: E0701000 80011D0B
	buffer_store_dword v30, v12, s[4:7], 0 offen               // 000000003764: E0701000 80011E0C
	buffer_store_dword v31, v13, s[4:7], 0 offen               // 00000000376C: E0701000 80011F0D
	buffer_store_dword v32, v14, s[8:11], 0 offen              // 000000003774: E0701000 8002200E
	buffer_store_dword v33, v15, s[8:11], 0 offen              // 00000000377C: E0701000 8002210F
	buffer_store_dword v34, v16, s[8:11], 0 offen              // 000000003784: E0701000 80022210
	s_branch label_0CDF                                        // 00000000378C: BF8205FB

0000000000003790 <label_06E4>:
	v_max_f32_e32 v41, v17, v18                                // 000000003790: 16522511
	v_max3_f32 v41, v41, v19, v20                              // 000000003794: D1D30029 04522729
	v_max_f32_e32 v42, v21, v22                                // 00000000379C: 16542D15
	v_max3_f32 v42, v42, v23, v24                              // 0000000037A0: D1D3002A 04622F2A
	v_max_f32_e32 v43, v25, v26                                // 0000000037A8: 16563519
	v_max3_f32 v43, v43, v27, v28                              // 0000000037AC: D1D3002B 0472372B
	v_max_f32_dpp v4, v41, v41 quad_perm:[1,0,3,2] row_mask:0xf bank_mask:0xf// 0000000037B4: 160852FA FF00B129
	v_max_f32_dpp v5, v42, v42 quad_perm:[1,0,3,2] row_mask:0xf bank_mask:0xf// 0000000037BC: 160A54FA FF00B12A
	v_max_f32_dpp v6, v43, v43 quad_perm:[1,0,3,2] row_mask:0xf bank_mask:0xf// 0000000037C4: 160C56FA FF00B12B
	v_max_f32_dpp v4, v4, v4 quad_perm:[2,3,0,1] row_mask:0xf bank_mask:0xf// 0000000037CC: 160808FA FF004E04
	v_max_f32_dpp v5, v5, v5 quad_perm:[2,3,0,1] row_mask:0xf bank_mask:0xf// 0000000037D4: 160A0AFA FF004E05
	v_max_f32_dpp v6, v6, v6 quad_perm:[2,3,0,1] row_mask:0xf bank_mask:0xf// 0000000037DC: 160C0CFA FF004E06
	v_max_f32_dpp v4, v4, v4 row_shr:4 row_mask:0xf bank_mask:0xf// 0000000037E4: 160808FA FF011404
	v_max_f32_dpp v5, v5, v5 row_shr:4 row_mask:0xf bank_mask:0xf// 0000000037EC: 160A0AFA FF011405
	v_max_f32_dpp v6, v6, v6 row_shr:4 row_mask:0xf bank_mask:0xf// 0000000037F4: 160C0CFA FF011406
	v_max_f32_dpp v4, v4, v4 row_shr:8 row_mask:0xf bank_mask:0xf// 0000000037FC: 160808FA FF011804
	v_max_f32_dpp v5, v5, v5 row_shr:8 row_mask:0xf bank_mask:0xf// 000000003804: 160A0AFA FF011805
	v_max_f32_dpp v6, v6, v6 row_shr:8 row_mask:0xf bank_mask:0xf// 00000000380C: 160C0CFA FF011806
	v_max_f32_dpp v4, v4, v4 row_bcast:15 row_mask:0xf bank_mask:0xf// 000000003814: 160808FA FF014204
	v_max_f32_dpp v5, v5, v5 row_bcast:15 row_mask:0xf bank_mask:0xf// 00000000381C: 160A0AFA FF014205
	v_max_f32_dpp v6, v6, v6 row_bcast:15 row_mask:0xf bank_mask:0xf// 000000003824: 160C0CFA FF014206
	v_max_f32_dpp v4, v4, v4 row_bcast:31 row_mask:0xf bank_mask:0xf// 00000000382C: 160808FA FF014304
	v_max_f32_dpp v5, v5, v5 row_bcast:31 row_mask:0xf bank_mask:0xf// 000000003834: 160A0AFA FF014305
	v_max_f32_dpp v6, v6, v6 row_bcast:31 row_mask:0xf bank_mask:0xf// 00000000383C: 160C0CFA FF014306
	v_readlane_b32 s20, v4, 63                                 // 000000003844: D2890014 00017F04
	v_mov_b32_e32 v41, s20                                     // 00000000384C: 7E520214
	v_readlane_b32 s21, v5, 63                                 // 000000003850: D2890015 00017F05
	v_mov_b32_e32 v42, s21                                     // 000000003858: 7E540215
	v_readlane_b32 s22, v6, 63                                 // 00000000385C: D2890016 00017F06
	v_mov_b32_e32 v43, s22                                     // 000000003864: 7E560216
	v_add_f32_e32 v47, v47, v41                                // 000000003868: 025E532F
	v_add_f32_e32 v48, v48, v42                                // 00000000386C: 02605530
	v_add_f32_e32 v49, v49, v43                                // 000000003870: 02625731
	v_cmp_eq_f32_e64 s[24:25], v41, v17                        // 000000003874: D0420018 00022329
	v_cmp_eq_f32_e64 s[26:27], v41, v18                        // 00000000387C: D042001A 00022529
	v_cmp_eq_f32_e64 s[28:29], v41, v19                        // 000000003884: D042001C 00022729
	v_cmp_eq_f32_e64 s[30:31], v41, v20                        // 00000000388C: D042001E 00022929
	s_ff1_i32_b64 s48, s[24:25]                                // 000000003894: BEB01118
	s_ff1_i32_b64 s49, s[26:27]                                // 000000003898: BEB1111A
	s_ff1_i32_b64 s50, s[28:29]                                // 00000000389C: BEB2111C
	s_ff1_i32_b64 s51, s[30:31]                                // 0000000038A0: BEB3111E
	v_cmp_eq_f32_e64 s[32:33], v42, v21                        // 0000000038A4: D0420020 00022B2A
	v_cmp_eq_f32_e64 s[34:35], v42, v22                        // 0000000038AC: D0420022 00022D2A
	v_cmp_eq_f32_e64 s[36:37], v42, v23                        // 0000000038B4: D0420024 00022F2A
	v_cmp_eq_f32_e64 s[38:39], v42, v24                        // 0000000038BC: D0420026 0002312A
	s_ff1_i32_b64 s52, s[32:33]                                // 0000000038C4: BEB41120
	s_ff1_i32_b64 s53, s[34:35]                                // 0000000038C8: BEB51122
	s_ff1_i32_b64 s54, s[36:37]                                // 0000000038CC: BEB61124
	s_ff1_i32_b64 s55, s[38:39]                                // 0000000038D0: BEB71126
	v_cmp_eq_f32_e64 s[40:41], v43, v25                        // 0000000038D4: D0420028 0002332B
	v_cmp_eq_f32_e64 s[42:43], v43, v26                        // 0000000038DC: D042002A 0002352B
	v_cmp_eq_f32_e64 s[44:45], v43, v27                        // 0000000038E4: D042002C 0002372B
	v_cmp_eq_f32_e64 s[46:47], v43, v28                        // 0000000038EC: D042002E 0002392B
	s_ff1_i32_b64 s56, s[40:41]                                // 0000000038F4: BEB81128
	s_ff1_i32_b64 s57, s[42:43]                                // 0000000038F8: BEB9112A
	s_ff1_i32_b64 s58, s[44:45]                                // 0000000038FC: BEBA112C
	s_ff1_i32_b64 s59, s[46:47]                                // 000000003900: BEBB112E
	v_readlane_b32 s20, v41, 0                                 // 000000003904: D2890014 00010129
	v_writelane_b32 v32, s20, 0                                // 00000000390C: D28A0020 00010014
	v_readlane_b32 s21, v42, 0                                 // 000000003914: D2890015 0001012A
	v_writelane_b32 v33, s21, 0                                // 00000000391C: D28A0021 00010015
	v_readlane_b32 s22, v43, 0                                 // 000000003924: D2890016 0001012B
	v_writelane_b32 v34, s22, 0                                // 00000000392C: D28A0022 00010016
	s_mov_b32 s22, s48                                         // 000000003934: BE960030
	s_cmp_eq_u32 s48, -1                                       // 000000003938: BF06C130
	s_cselect_b32 s21, 1, 0                                    // 00000000393C: 85158081
	s_cbranch_scc0 label_0761                                  // 000000003940: BF840010
	s_add_u32 s72, s21, s72                                    // 000000003944: 80484815
	s_mov_b32 s22, s49                                         // 000000003948: BE960031
	s_cmp_eq_u32 s49, -1                                       // 00000000394C: BF06C131
	s_cselect_b32 s21, 1, 0                                    // 000000003950: 85158081
	s_cbranch_scc0 label_0761                                  // 000000003954: BF84000B
	s_add_u32 s72, s21, s72                                    // 000000003958: 80484815
	s_mov_b32 s22, s50                                         // 00000000395C: BE960032
	s_cmp_eq_u32 s50, -1                                       // 000000003960: BF06C132
	s_cselect_b32 s21, 1, 0                                    // 000000003964: 85158081
	s_cbranch_scc0 label_0761                                  // 000000003968: BF840006
	s_add_u32 s72, s21, s72                                    // 00000000396C: 80484815
	s_mov_b32 s22, s51                                         // 000000003970: BE960033
	s_cmp_eq_u32 s51, -1                                       // 000000003974: BF06C133
	s_cselect_b32 s21, 1, 0                                    // 000000003978: 85158081
	s_cbranch_scc0 label_0761                                  // 00000000397C: BF840001
	s_add_u32 s72, s21, s72                                    // 000000003980: 80484815

0000000000003984 <label_0761>:
	s_set_gpr_idx_on s72, gpr_idx(DST)                         // 000000003984: BF110848
	v_writelane_b32 v17, 0, s22                                // 000000003988: D28A0011 00002C80
	s_set_gpr_idx_off                                          // 000000003990: BF9C0000
	s_mul_i32 s72, 64, s72                                     // 000000003994: 924848C0
	s_add_u32 s72, s22, s72                                    // 000000003998: 80484816
	v_writelane_b32 v29, s72, 0                                // 00000000399C: D28A001D 00010048
	s_mov_b32 s22, s52                                         // 0000000039A4: BE960034
	s_cmp_eq_u32 s52, -1                                       // 0000000039A8: BF06C134
	s_cselect_b32 s21, 1, 0                                    // 0000000039AC: 85158081
	s_cbranch_scc0 label_077D                                  // 0000000039B0: BF840010
	s_add_u32 s80, s21, s80                                    // 0000000039B4: 80505015
	s_mov_b32 s22, s53                                         // 0000000039B8: BE960035
	s_cmp_eq_u32 s53, -1                                       // 0000000039BC: BF06C135
	s_cselect_b32 s21, 1, 0                                    // 0000000039C0: 85158081
	s_cbranch_scc0 label_077D                                  // 0000000039C4: BF84000B
	s_add_u32 s80, s21, s80                                    // 0000000039C8: 80505015
	s_mov_b32 s22, s54                                         // 0000000039CC: BE960036
	s_cmp_eq_u32 s54, -1                                       // 0000000039D0: BF06C136
	s_cselect_b32 s21, 1, 0                                    // 0000000039D4: 85158081
	s_cbranch_scc0 label_077D                                  // 0000000039D8: BF840006
	s_add_u32 s80, s21, s80                                    // 0000000039DC: 80505015
	s_mov_b32 s22, s55                                         // 0000000039E0: BE960037
	s_cmp_eq_u32 s55, -1                                       // 0000000039E4: BF06C137
	s_cselect_b32 s21, 1, 0                                    // 0000000039E8: 85158081
	s_cbranch_scc0 label_077D                                  // 0000000039EC: BF840001
	s_add_u32 s80, s21, s80                                    // 0000000039F0: 80505015

00000000000039f4 <label_077D>:
	s_set_gpr_idx_on s80, gpr_idx(DST)                         // 0000000039F4: BF110850
	v_writelane_b32 v21, 0, s22                                // 0000000039F8: D28A0015 00002C80
	s_set_gpr_idx_off                                          // 000000003A00: BF9C0000
	s_mul_i32 s80, 64, s80                                     // 000000003A04: 925050C0
	s_add_u32 s80, s22, s80                                    // 000000003A08: 80505016
	v_writelane_b32 v30, s80, 0                                // 000000003A0C: D28A001E 00010050
	s_mov_b32 s22, s56                                         // 000000003A14: BE960038
	s_cmp_eq_u32 s56, -1                                       // 000000003A18: BF06C138
	s_cselect_b32 s21, 1, 0                                    // 000000003A1C: 85158081
	s_cbranch_scc0 label_0799                                  // 000000003A20: BF840010
	s_add_u32 s88, s21, s88                                    // 000000003A24: 80585815
	s_mov_b32 s22, s57                                         // 000000003A28: BE960039
	s_cmp_eq_u32 s57, -1                                       // 000000003A2C: BF06C139
	s_cselect_b32 s21, 1, 0                                    // 000000003A30: 85158081
	s_cbranch_scc0 label_0799                                  // 000000003A34: BF84000B
	s_add_u32 s88, s21, s88                                    // 000000003A38: 80585815
	s_mov_b32 s22, s58                                         // 000000003A3C: BE96003A
	s_cmp_eq_u32 s58, -1                                       // 000000003A40: BF06C13A
	s_cselect_b32 s21, 1, 0                                    // 000000003A44: 85158081
	s_cbranch_scc0 label_0799                                  // 000000003A48: BF840006
	s_add_u32 s88, s21, s88                                    // 000000003A4C: 80585815
	s_mov_b32 s22, s59                                         // 000000003A50: BE96003B
	s_cmp_eq_u32 s59, -1                                       // 000000003A54: BF06C13B
	s_cselect_b32 s21, 1, 0                                    // 000000003A58: 85158081
	s_cbranch_scc0 label_0799                                  // 000000003A5C: BF840001
	s_add_u32 s88, s21, s88                                    // 000000003A60: 80585815

0000000000003a64 <label_0799>:
	s_set_gpr_idx_on s88, gpr_idx(DST)                         // 000000003A64: BF110858
	v_writelane_b32 v25, 0, s22                                // 000000003A68: D28A0019 00002C80
	s_set_gpr_idx_off                                          // 000000003A70: BF9C0000
	s_mul_i32 s88, 64, s88                                     // 000000003A74: 925858C0
	s_add_u32 s88, s22, s88                                    // 000000003A78: 80585816
	v_writelane_b32 v31, s88, 0                                // 000000003A7C: D28A001F 00010058
	v_max_f32_e32 v41, v17, v18                                // 000000003A84: 16522511
	v_max3_f32 v41, v41, v19, v20                              // 000000003A88: D1D30029 04522729
	v_max_f32_e32 v42, v21, v22                                // 000000003A90: 16542D15
	v_max3_f32 v42, v42, v23, v24                              // 000000003A94: D1D3002A 04622F2A
	v_max_f32_e32 v43, v25, v26                                // 000000003A9C: 16563519
	v_max3_f32 v43, v43, v27, v28                              // 000000003AA0: D1D3002B 0472372B
	v_max_f32_dpp v4, v41, v41 quad_perm:[1,0,3,2] row_mask:0xf bank_mask:0xf// 000000003AA8: 160852FA FF00B129
	v_max_f32_dpp v5, v42, v42 quad_perm:[1,0,3,2] row_mask:0xf bank_mask:0xf// 000000003AB0: 160A54FA FF00B12A
	v_max_f32_dpp v6, v43, v43 quad_perm:[1,0,3,2] row_mask:0xf bank_mask:0xf// 000000003AB8: 160C56FA FF00B12B
	v_max_f32_dpp v4, v4, v4 quad_perm:[2,3,0,1] row_mask:0xf bank_mask:0xf// 000000003AC0: 160808FA FF004E04
	v_max_f32_dpp v5, v5, v5 quad_perm:[2,3,0,1] row_mask:0xf bank_mask:0xf// 000000003AC8: 160A0AFA FF004E05
	v_max_f32_dpp v6, v6, v6 quad_perm:[2,3,0,1] row_mask:0xf bank_mask:0xf// 000000003AD0: 160C0CFA FF004E06
	v_max_f32_dpp v4, v4, v4 row_shr:4 row_mask:0xf bank_mask:0xf// 000000003AD8: 160808FA FF011404
	v_max_f32_dpp v5, v5, v5 row_shr:4 row_mask:0xf bank_mask:0xf// 000000003AE0: 160A0AFA FF011405
	v_max_f32_dpp v6, v6, v6 row_shr:4 row_mask:0xf bank_mask:0xf// 000000003AE8: 160C0CFA FF011406
	v_max_f32_dpp v4, v4, v4 row_shr:8 row_mask:0xf bank_mask:0xf// 000000003AF0: 160808FA FF011804
	v_max_f32_dpp v5, v5, v5 row_shr:8 row_mask:0xf bank_mask:0xf// 000000003AF8: 160A0AFA FF011805
	v_max_f32_dpp v6, v6, v6 row_shr:8 row_mask:0xf bank_mask:0xf// 000000003B00: 160C0CFA FF011806
	v_max_f32_dpp v4, v4, v4 row_bcast:15 row_mask:0xf bank_mask:0xf// 000000003B08: 160808FA FF014204
	v_max_f32_dpp v5, v5, v5 row_bcast:15 row_mask:0xf bank_mask:0xf// 000000003B10: 160A0AFA FF014205
	v_max_f32_dpp v6, v6, v6 row_bcast:15 row_mask:0xf bank_mask:0xf// 000000003B18: 160C0CFA FF014206
	v_max_f32_dpp v4, v4, v4 row_bcast:31 row_mask:0xf bank_mask:0xf// 000000003B20: 160808FA FF014304
	v_max_f32_dpp v5, v5, v5 row_bcast:31 row_mask:0xf bank_mask:0xf// 000000003B28: 160A0AFA FF014305
	v_max_f32_dpp v6, v6, v6 row_bcast:31 row_mask:0xf bank_mask:0xf// 000000003B30: 160C0CFA FF014306
	v_readlane_b32 s20, v4, 63                                 // 000000003B38: D2890014 00017F04
	v_mov_b32_e32 v41, s20                                     // 000000003B40: 7E520214
	v_readlane_b32 s21, v5, 63                                 // 000000003B44: D2890015 00017F05
	v_mov_b32_e32 v42, s21                                     // 000000003B4C: 7E540215
	v_readlane_b32 s22, v6, 63                                 // 000000003B50: D2890016 00017F06
	v_mov_b32_e32 v43, s22                                     // 000000003B58: 7E560216
	v_add_f32_e32 v47, v47, v41                                // 000000003B5C: 025E532F
	v_add_f32_e32 v48, v48, v42                                // 000000003B60: 02605530
	v_add_f32_e32 v49, v49, v43                                // 000000003B64: 02625731
	v_cmp_eq_f32_e64 s[24:25], v41, v17                        // 000000003B68: D0420018 00022329
	v_cmp_eq_f32_e64 s[26:27], v41, v18                        // 000000003B70: D042001A 00022529
	v_cmp_eq_f32_e64 s[28:29], v41, v19                        // 000000003B78: D042001C 00022729
	v_cmp_eq_f32_e64 s[30:31], v41, v20                        // 000000003B80: D042001E 00022929
	s_ff1_i32_b64 s48, s[24:25]                                // 000000003B88: BEB01118
	s_ff1_i32_b64 s49, s[26:27]                                // 000000003B8C: BEB1111A
	s_ff1_i32_b64 s50, s[28:29]                                // 000000003B90: BEB2111C
	s_ff1_i32_b64 s51, s[30:31]                                // 000000003B94: BEB3111E
	v_cmp_eq_f32_e64 s[32:33], v42, v21                        // 000000003B98: D0420020 00022B2A
	v_cmp_eq_f32_e64 s[34:35], v42, v22                        // 000000003BA0: D0420022 00022D2A
	v_cmp_eq_f32_e64 s[36:37], v42, v23                        // 000000003BA8: D0420024 00022F2A
	v_cmp_eq_f32_e64 s[38:39], v42, v24                        // 000000003BB0: D0420026 0002312A
	s_ff1_i32_b64 s52, s[32:33]                                // 000000003BB8: BEB41120
	s_ff1_i32_b64 s53, s[34:35]                                // 000000003BBC: BEB51122
	s_ff1_i32_b64 s54, s[36:37]                                // 000000003BC0: BEB61124
	s_ff1_i32_b64 s55, s[38:39]                                // 000000003BC4: BEB71126
	v_cmp_eq_f32_e64 s[40:41], v43, v25                        // 000000003BC8: D0420028 0002332B
	v_cmp_eq_f32_e64 s[42:43], v43, v26                        // 000000003BD0: D042002A 0002352B
	v_cmp_eq_f32_e64 s[44:45], v43, v27                        // 000000003BD8: D042002C 0002372B
	v_cmp_eq_f32_e64 s[46:47], v43, v28                        // 000000003BE0: D042002E 0002392B
	s_ff1_i32_b64 s56, s[40:41]                                // 000000003BE8: BEB81128
	s_ff1_i32_b64 s57, s[42:43]                                // 000000003BEC: BEB9112A
	s_ff1_i32_b64 s58, s[44:45]                                // 000000003BF0: BEBA112C
	s_ff1_i32_b64 s59, s[46:47]                                // 000000003BF4: BEBB112E
	v_readlane_b32 s20, v41, 0                                 // 000000003BF8: D2890014 00010129
	v_writelane_b32 v32, s20, 1                                // 000000003C00: D28A0020 00010214
	v_readlane_b32 s21, v42, 0                                 // 000000003C08: D2890015 0001012A
	v_writelane_b32 v33, s21, 1                                // 000000003C10: D28A0021 00010215
	v_readlane_b32 s22, v43, 0                                 // 000000003C18: D2890016 0001012B
	v_writelane_b32 v34, s22, 1                                // 000000003C20: D28A0022 00010216
	s_mov_b32 s22, s48                                         // 000000003C28: BE960030
	s_cmp_eq_u32 s48, -1                                       // 000000003C2C: BF06C130
	s_cselect_b32 s21, 1, 0                                    // 000000003C30: 85158081
	s_cbranch_scc0 label_081E                                  // 000000003C34: BF840010
	s_add_u32 s73, s21, s73                                    // 000000003C38: 80494915
	s_mov_b32 s22, s49                                         // 000000003C3C: BE960031
	s_cmp_eq_u32 s49, -1                                       // 000000003C40: BF06C131
	s_cselect_b32 s21, 1, 0                                    // 000000003C44: 85158081
	s_cbranch_scc0 label_081E                                  // 000000003C48: BF84000B
	s_add_u32 s73, s21, s73                                    // 000000003C4C: 80494915
	s_mov_b32 s22, s50                                         // 000000003C50: BE960032
	s_cmp_eq_u32 s50, -1                                       // 000000003C54: BF06C132
	s_cselect_b32 s21, 1, 0                                    // 000000003C58: 85158081
	s_cbranch_scc0 label_081E                                  // 000000003C5C: BF840006
	s_add_u32 s73, s21, s73                                    // 000000003C60: 80494915
	s_mov_b32 s22, s51                                         // 000000003C64: BE960033
	s_cmp_eq_u32 s51, -1                                       // 000000003C68: BF06C133
	s_cselect_b32 s21, 1, 0                                    // 000000003C6C: 85158081
	s_cbranch_scc0 label_081E                                  // 000000003C70: BF840001
	s_add_u32 s73, s21, s73                                    // 000000003C74: 80494915

0000000000003c78 <label_081E>:
	s_set_gpr_idx_on s73, gpr_idx(DST)                         // 000000003C78: BF110849
	v_writelane_b32 v17, 0, s22                                // 000000003C7C: D28A0011 00002C80
	s_set_gpr_idx_off                                          // 000000003C84: BF9C0000
	s_mul_i32 s73, 64, s73                                     // 000000003C88: 924949C0
	s_add_u32 s73, s22, s73                                    // 000000003C8C: 80494916
	v_writelane_b32 v29, s73, 1                                // 000000003C90: D28A001D 00010249
	s_mov_b32 s22, s52                                         // 000000003C98: BE960034
	s_cmp_eq_u32 s52, -1                                       // 000000003C9C: BF06C134
	s_cselect_b32 s21, 1, 0                                    // 000000003CA0: 85158081
	s_cbranch_scc0 label_083A                                  // 000000003CA4: BF840010
	s_add_u32 s81, s21, s81                                    // 000000003CA8: 80515115
	s_mov_b32 s22, s53                                         // 000000003CAC: BE960035
	s_cmp_eq_u32 s53, -1                                       // 000000003CB0: BF06C135
	s_cselect_b32 s21, 1, 0                                    // 000000003CB4: 85158081
	s_cbranch_scc0 label_083A                                  // 000000003CB8: BF84000B
	s_add_u32 s81, s21, s81                                    // 000000003CBC: 80515115
	s_mov_b32 s22, s54                                         // 000000003CC0: BE960036
	s_cmp_eq_u32 s54, -1                                       // 000000003CC4: BF06C136
	s_cselect_b32 s21, 1, 0                                    // 000000003CC8: 85158081
	s_cbranch_scc0 label_083A                                  // 000000003CCC: BF840006
	s_add_u32 s81, s21, s81                                    // 000000003CD0: 80515115
	s_mov_b32 s22, s55                                         // 000000003CD4: BE960037
	s_cmp_eq_u32 s55, -1                                       // 000000003CD8: BF06C137
	s_cselect_b32 s21, 1, 0                                    // 000000003CDC: 85158081
	s_cbranch_scc0 label_083A                                  // 000000003CE0: BF840001
	s_add_u32 s81, s21, s81                                    // 000000003CE4: 80515115

0000000000003ce8 <label_083A>:
	s_set_gpr_idx_on s81, gpr_idx(DST)                         // 000000003CE8: BF110851
	v_writelane_b32 v21, 0, s22                                // 000000003CEC: D28A0015 00002C80
	s_set_gpr_idx_off                                          // 000000003CF4: BF9C0000
	s_mul_i32 s81, 64, s81                                     // 000000003CF8: 925151C0
	s_add_u32 s81, s22, s81                                    // 000000003CFC: 80515116
	v_writelane_b32 v30, s81, 1                                // 000000003D00: D28A001E 00010251
	s_mov_b32 s22, s56                                         // 000000003D08: BE960038
	s_cmp_eq_u32 s56, -1                                       // 000000003D0C: BF06C138
	s_cselect_b32 s21, 1, 0                                    // 000000003D10: 85158081
	s_cbranch_scc0 label_0856                                  // 000000003D14: BF840010
	s_add_u32 s89, s21, s89                                    // 000000003D18: 80595915
	s_mov_b32 s22, s57                                         // 000000003D1C: BE960039
	s_cmp_eq_u32 s57, -1                                       // 000000003D20: BF06C139
	s_cselect_b32 s21, 1, 0                                    // 000000003D24: 85158081
	s_cbranch_scc0 label_0856                                  // 000000003D28: BF84000B
	s_add_u32 s89, s21, s89                                    // 000000003D2C: 80595915
	s_mov_b32 s22, s58                                         // 000000003D30: BE96003A
	s_cmp_eq_u32 s58, -1                                       // 000000003D34: BF06C13A
	s_cselect_b32 s21, 1, 0                                    // 000000003D38: 85158081
	s_cbranch_scc0 label_0856                                  // 000000003D3C: BF840006
	s_add_u32 s89, s21, s89                                    // 000000003D40: 80595915
	s_mov_b32 s22, s59                                         // 000000003D44: BE96003B
	s_cmp_eq_u32 s59, -1                                       // 000000003D48: BF06C13B
	s_cselect_b32 s21, 1, 0                                    // 000000003D4C: 85158081
	s_cbranch_scc0 label_0856                                  // 000000003D50: BF840001
	s_add_u32 s89, s21, s89                                    // 000000003D54: 80595915

0000000000003d58 <label_0856>:
	s_set_gpr_idx_on s89, gpr_idx(DST)                         // 000000003D58: BF110859
	v_writelane_b32 v25, 0, s22                                // 000000003D5C: D28A0019 00002C80
	s_set_gpr_idx_off                                          // 000000003D64: BF9C0000
	s_mul_i32 s89, 64, s89                                     // 000000003D68: 925959C0
	s_add_u32 s89, s22, s89                                    // 000000003D6C: 80595916
	v_writelane_b32 v31, s89, 1                                // 000000003D70: D28A001F 00010259
	v_max_f32_e32 v41, v17, v18                                // 000000003D78: 16522511
	v_max3_f32 v41, v41, v19, v20                              // 000000003D7C: D1D30029 04522729
	v_max_f32_e32 v42, v21, v22                                // 000000003D84: 16542D15
	v_max3_f32 v42, v42, v23, v24                              // 000000003D88: D1D3002A 04622F2A
	v_max_f32_e32 v43, v25, v26                                // 000000003D90: 16563519
	v_max3_f32 v43, v43, v27, v28                              // 000000003D94: D1D3002B 0472372B
	v_max_f32_dpp v4, v41, v41 quad_perm:[1,0,3,2] row_mask:0xf bank_mask:0xf// 000000003D9C: 160852FA FF00B129
	v_max_f32_dpp v5, v42, v42 quad_perm:[1,0,3,2] row_mask:0xf bank_mask:0xf// 000000003DA4: 160A54FA FF00B12A
	v_max_f32_dpp v6, v43, v43 quad_perm:[1,0,3,2] row_mask:0xf bank_mask:0xf// 000000003DAC: 160C56FA FF00B12B
	v_max_f32_dpp v4, v4, v4 quad_perm:[2,3,0,1] row_mask:0xf bank_mask:0xf// 000000003DB4: 160808FA FF004E04
	v_max_f32_dpp v5, v5, v5 quad_perm:[2,3,0,1] row_mask:0xf bank_mask:0xf// 000000003DBC: 160A0AFA FF004E05
	v_max_f32_dpp v6, v6, v6 quad_perm:[2,3,0,1] row_mask:0xf bank_mask:0xf// 000000003DC4: 160C0CFA FF004E06
	v_max_f32_dpp v4, v4, v4 row_shr:4 row_mask:0xf bank_mask:0xf// 000000003DCC: 160808FA FF011404
	v_max_f32_dpp v5, v5, v5 row_shr:4 row_mask:0xf bank_mask:0xf// 000000003DD4: 160A0AFA FF011405
	v_max_f32_dpp v6, v6, v6 row_shr:4 row_mask:0xf bank_mask:0xf// 000000003DDC: 160C0CFA FF011406
	v_max_f32_dpp v4, v4, v4 row_shr:8 row_mask:0xf bank_mask:0xf// 000000003DE4: 160808FA FF011804
	v_max_f32_dpp v5, v5, v5 row_shr:8 row_mask:0xf bank_mask:0xf// 000000003DEC: 160A0AFA FF011805
	v_max_f32_dpp v6, v6, v6 row_shr:8 row_mask:0xf bank_mask:0xf// 000000003DF4: 160C0CFA FF011806
	v_max_f32_dpp v4, v4, v4 row_bcast:15 row_mask:0xf bank_mask:0xf// 000000003DFC: 160808FA FF014204
	v_max_f32_dpp v5, v5, v5 row_bcast:15 row_mask:0xf bank_mask:0xf// 000000003E04: 160A0AFA FF014205
	v_max_f32_dpp v6, v6, v6 row_bcast:15 row_mask:0xf bank_mask:0xf// 000000003E0C: 160C0CFA FF014206
	v_max_f32_dpp v4, v4, v4 row_bcast:31 row_mask:0xf bank_mask:0xf// 000000003E14: 160808FA FF014304
	v_max_f32_dpp v5, v5, v5 row_bcast:31 row_mask:0xf bank_mask:0xf// 000000003E1C: 160A0AFA FF014305
	v_max_f32_dpp v6, v6, v6 row_bcast:31 row_mask:0xf bank_mask:0xf// 000000003E24: 160C0CFA FF014306
	v_readlane_b32 s20, v4, 63                                 // 000000003E2C: D2890014 00017F04
	v_mov_b32_e32 v41, s20                                     // 000000003E34: 7E520214
	v_readlane_b32 s21, v5, 63                                 // 000000003E38: D2890015 00017F05
	v_mov_b32_e32 v42, s21                                     // 000000003E40: 7E540215
	v_readlane_b32 s22, v6, 63                                 // 000000003E44: D2890016 00017F06
	v_mov_b32_e32 v43, s22                                     // 000000003E4C: 7E560216
	v_add_f32_e32 v47, v47, v41                                // 000000003E50: 025E532F
	v_add_f32_e32 v48, v48, v42                                // 000000003E54: 02605530
	v_add_f32_e32 v49, v49, v43                                // 000000003E58: 02625731
	v_cmp_eq_f32_e64 s[24:25], v41, v17                        // 000000003E5C: D0420018 00022329
	v_cmp_eq_f32_e64 s[26:27], v41, v18                        // 000000003E64: D042001A 00022529
	v_cmp_eq_f32_e64 s[28:29], v41, v19                        // 000000003E6C: D042001C 00022729
	v_cmp_eq_f32_e64 s[30:31], v41, v20                        // 000000003E74: D042001E 00022929
	s_ff1_i32_b64 s48, s[24:25]                                // 000000003E7C: BEB01118
	s_ff1_i32_b64 s49, s[26:27]                                // 000000003E80: BEB1111A
	s_ff1_i32_b64 s50, s[28:29]                                // 000000003E84: BEB2111C
	s_ff1_i32_b64 s51, s[30:31]                                // 000000003E88: BEB3111E
	v_cmp_eq_f32_e64 s[32:33], v42, v21                        // 000000003E8C: D0420020 00022B2A
	v_cmp_eq_f32_e64 s[34:35], v42, v22                        // 000000003E94: D0420022 00022D2A
	v_cmp_eq_f32_e64 s[36:37], v42, v23                        // 000000003E9C: D0420024 00022F2A
	v_cmp_eq_f32_e64 s[38:39], v42, v24                        // 000000003EA4: D0420026 0002312A
	s_ff1_i32_b64 s52, s[32:33]                                // 000000003EAC: BEB41120
	s_ff1_i32_b64 s53, s[34:35]                                // 000000003EB0: BEB51122
	s_ff1_i32_b64 s54, s[36:37]                                // 000000003EB4: BEB61124
	s_ff1_i32_b64 s55, s[38:39]                                // 000000003EB8: BEB71126
	v_cmp_eq_f32_e64 s[40:41], v43, v25                        // 000000003EBC: D0420028 0002332B
	v_cmp_eq_f32_e64 s[42:43], v43, v26                        // 000000003EC4: D042002A 0002352B
	v_cmp_eq_f32_e64 s[44:45], v43, v27                        // 000000003ECC: D042002C 0002372B
	v_cmp_eq_f32_e64 s[46:47], v43, v28                        // 000000003ED4: D042002E 0002392B
	s_ff1_i32_b64 s56, s[40:41]                                // 000000003EDC: BEB81128
	s_ff1_i32_b64 s57, s[42:43]                                // 000000003EE0: BEB9112A
	s_ff1_i32_b64 s58, s[44:45]                                // 000000003EE4: BEBA112C
	s_ff1_i32_b64 s59, s[46:47]                                // 000000003EE8: BEBB112E
	v_readlane_b32 s20, v41, 0                                 // 000000003EEC: D2890014 00010129
	v_writelane_b32 v32, s20, 2                                // 000000003EF4: D28A0020 00010414
	v_readlane_b32 s21, v42, 0                                 // 000000003EFC: D2890015 0001012A
	v_writelane_b32 v33, s21, 2                                // 000000003F04: D28A0021 00010415
	v_readlane_b32 s22, v43, 0                                 // 000000003F0C: D2890016 0001012B
	v_writelane_b32 v34, s22, 2                                // 000000003F14: D28A0022 00010416
	s_mov_b32 s22, s48                                         // 000000003F1C: BE960030
	s_cmp_eq_u32 s48, -1                                       // 000000003F20: BF06C130
	s_cselect_b32 s21, 1, 0                                    // 000000003F24: 85158081
	s_cbranch_scc0 label_08DB                                  // 000000003F28: BF840010
	s_add_u32 s74, s21, s74                                    // 000000003F2C: 804A4A15
	s_mov_b32 s22, s49                                         // 000000003F30: BE960031
	s_cmp_eq_u32 s49, -1                                       // 000000003F34: BF06C131
	s_cselect_b32 s21, 1, 0                                    // 000000003F38: 85158081
	s_cbranch_scc0 label_08DB                                  // 000000003F3C: BF84000B
	s_add_u32 s74, s21, s74                                    // 000000003F40: 804A4A15
	s_mov_b32 s22, s50                                         // 000000003F44: BE960032
	s_cmp_eq_u32 s50, -1                                       // 000000003F48: BF06C132
	s_cselect_b32 s21, 1, 0                                    // 000000003F4C: 85158081
	s_cbranch_scc0 label_08DB                                  // 000000003F50: BF840006
	s_add_u32 s74, s21, s74                                    // 000000003F54: 804A4A15
	s_mov_b32 s22, s51                                         // 000000003F58: BE960033
	s_cmp_eq_u32 s51, -1                                       // 000000003F5C: BF06C133
	s_cselect_b32 s21, 1, 0                                    // 000000003F60: 85158081
	s_cbranch_scc0 label_08DB                                  // 000000003F64: BF840001
	s_add_u32 s74, s21, s74                                    // 000000003F68: 804A4A15

0000000000003f6c <label_08DB>:
	s_set_gpr_idx_on s74, gpr_idx(DST)                         // 000000003F6C: BF11084A
	v_writelane_b32 v17, 0, s22                                // 000000003F70: D28A0011 00002C80
	s_set_gpr_idx_off                                          // 000000003F78: BF9C0000
	s_mul_i32 s74, 64, s74                                     // 000000003F7C: 924A4AC0
	s_add_u32 s74, s22, s74                                    // 000000003F80: 804A4A16
	v_writelane_b32 v29, s74, 2                                // 000000003F84: D28A001D 0001044A
	s_mov_b32 s22, s52                                         // 000000003F8C: BE960034
	s_cmp_eq_u32 s52, -1                                       // 000000003F90: BF06C134
	s_cselect_b32 s21, 1, 0                                    // 000000003F94: 85158081
	s_cbranch_scc0 label_08F7                                  // 000000003F98: BF840010
	s_add_u32 s82, s21, s82                                    // 000000003F9C: 80525215
	s_mov_b32 s22, s53                                         // 000000003FA0: BE960035
	s_cmp_eq_u32 s53, -1                                       // 000000003FA4: BF06C135
	s_cselect_b32 s21, 1, 0                                    // 000000003FA8: 85158081
	s_cbranch_scc0 label_08F7                                  // 000000003FAC: BF84000B
	s_add_u32 s82, s21, s82                                    // 000000003FB0: 80525215
	s_mov_b32 s22, s54                                         // 000000003FB4: BE960036
	s_cmp_eq_u32 s54, -1                                       // 000000003FB8: BF06C136
	s_cselect_b32 s21, 1, 0                                    // 000000003FBC: 85158081
	s_cbranch_scc0 label_08F7                                  // 000000003FC0: BF840006
	s_add_u32 s82, s21, s82                                    // 000000003FC4: 80525215
	s_mov_b32 s22, s55                                         // 000000003FC8: BE960037
	s_cmp_eq_u32 s55, -1                                       // 000000003FCC: BF06C137
	s_cselect_b32 s21, 1, 0                                    // 000000003FD0: 85158081
	s_cbranch_scc0 label_08F7                                  // 000000003FD4: BF840001
	s_add_u32 s82, s21, s82                                    // 000000003FD8: 80525215

0000000000003fdc <label_08F7>:
	s_set_gpr_idx_on s82, gpr_idx(DST)                         // 000000003FDC: BF110852
	v_writelane_b32 v21, 0, s22                                // 000000003FE0: D28A0015 00002C80
	s_set_gpr_idx_off                                          // 000000003FE8: BF9C0000
	s_mul_i32 s82, 64, s82                                     // 000000003FEC: 925252C0
	s_add_u32 s82, s22, s82                                    // 000000003FF0: 80525216
	v_writelane_b32 v30, s82, 2                                // 000000003FF4: D28A001E 00010452
	s_mov_b32 s22, s56                                         // 000000003FFC: BE960038
	s_cmp_eq_u32 s56, -1                                       // 000000004000: BF06C138
	s_cselect_b32 s21, 1, 0                                    // 000000004004: 85158081
	s_cbranch_scc0 label_0913                                  // 000000004008: BF840010
	s_add_u32 s90, s21, s90                                    // 00000000400C: 805A5A15
	s_mov_b32 s22, s57                                         // 000000004010: BE960039
	s_cmp_eq_u32 s57, -1                                       // 000000004014: BF06C139
	s_cselect_b32 s21, 1, 0                                    // 000000004018: 85158081
	s_cbranch_scc0 label_0913                                  // 00000000401C: BF84000B
	s_add_u32 s90, s21, s90                                    // 000000004020: 805A5A15
	s_mov_b32 s22, s58                                         // 000000004024: BE96003A
	s_cmp_eq_u32 s58, -1                                       // 000000004028: BF06C13A
	s_cselect_b32 s21, 1, 0                                    // 00000000402C: 85158081
	s_cbranch_scc0 label_0913                                  // 000000004030: BF840006
	s_add_u32 s90, s21, s90                                    // 000000004034: 805A5A15
	s_mov_b32 s22, s59                                         // 000000004038: BE96003B
	s_cmp_eq_u32 s59, -1                                       // 00000000403C: BF06C13B
	s_cselect_b32 s21, 1, 0                                    // 000000004040: 85158081
	s_cbranch_scc0 label_0913                                  // 000000004044: BF840001
	s_add_u32 s90, s21, s90                                    // 000000004048: 805A5A15

000000000000404c <label_0913>:
	s_set_gpr_idx_on s90, gpr_idx(DST)                         // 00000000404C: BF11085A
	v_writelane_b32 v25, 0, s22                                // 000000004050: D28A0019 00002C80
	s_set_gpr_idx_off                                          // 000000004058: BF9C0000
	s_mul_i32 s90, 64, s90                                     // 00000000405C: 925A5AC0
	s_add_u32 s90, s22, s90                                    // 000000004060: 805A5A16
	v_writelane_b32 v31, s90, 2                                // 000000004064: D28A001F 0001045A
	v_max_f32_e32 v41, v17, v18                                // 00000000406C: 16522511
	v_max3_f32 v41, v41, v19, v20                              // 000000004070: D1D30029 04522729
	v_max_f32_e32 v42, v21, v22                                // 000000004078: 16542D15
	v_max3_f32 v42, v42, v23, v24                              // 00000000407C: D1D3002A 04622F2A
	v_max_f32_e32 v43, v25, v26                                // 000000004084: 16563519
	v_max3_f32 v43, v43, v27, v28                              // 000000004088: D1D3002B 0472372B
	v_max_f32_dpp v4, v41, v41 quad_perm:[1,0,3,2] row_mask:0xf bank_mask:0xf// 000000004090: 160852FA FF00B129
	v_max_f32_dpp v5, v42, v42 quad_perm:[1,0,3,2] row_mask:0xf bank_mask:0xf// 000000004098: 160A54FA FF00B12A
	v_max_f32_dpp v6, v43, v43 quad_perm:[1,0,3,2] row_mask:0xf bank_mask:0xf// 0000000040A0: 160C56FA FF00B12B
	v_max_f32_dpp v4, v4, v4 quad_perm:[2,3,0,1] row_mask:0xf bank_mask:0xf// 0000000040A8: 160808FA FF004E04
	v_max_f32_dpp v5, v5, v5 quad_perm:[2,3,0,1] row_mask:0xf bank_mask:0xf// 0000000040B0: 160A0AFA FF004E05
	v_max_f32_dpp v6, v6, v6 quad_perm:[2,3,0,1] row_mask:0xf bank_mask:0xf// 0000000040B8: 160C0CFA FF004E06
	v_max_f32_dpp v4, v4, v4 row_shr:4 row_mask:0xf bank_mask:0xf// 0000000040C0: 160808FA FF011404
	v_max_f32_dpp v5, v5, v5 row_shr:4 row_mask:0xf bank_mask:0xf// 0000000040C8: 160A0AFA FF011405
	v_max_f32_dpp v6, v6, v6 row_shr:4 row_mask:0xf bank_mask:0xf// 0000000040D0: 160C0CFA FF011406
	v_max_f32_dpp v4, v4, v4 row_shr:8 row_mask:0xf bank_mask:0xf// 0000000040D8: 160808FA FF011804
	v_max_f32_dpp v5, v5, v5 row_shr:8 row_mask:0xf bank_mask:0xf// 0000000040E0: 160A0AFA FF011805
	v_max_f32_dpp v6, v6, v6 row_shr:8 row_mask:0xf bank_mask:0xf// 0000000040E8: 160C0CFA FF011806
	v_max_f32_dpp v4, v4, v4 row_bcast:15 row_mask:0xf bank_mask:0xf// 0000000040F0: 160808FA FF014204
	v_max_f32_dpp v5, v5, v5 row_bcast:15 row_mask:0xf bank_mask:0xf// 0000000040F8: 160A0AFA FF014205
	v_max_f32_dpp v6, v6, v6 row_bcast:15 row_mask:0xf bank_mask:0xf// 000000004100: 160C0CFA FF014206
	v_max_f32_dpp v4, v4, v4 row_bcast:31 row_mask:0xf bank_mask:0xf// 000000004108: 160808FA FF014304
	v_max_f32_dpp v5, v5, v5 row_bcast:31 row_mask:0xf bank_mask:0xf// 000000004110: 160A0AFA FF014305
	v_max_f32_dpp v6, v6, v6 row_bcast:31 row_mask:0xf bank_mask:0xf// 000000004118: 160C0CFA FF014306
	v_readlane_b32 s20, v4, 63                                 // 000000004120: D2890014 00017F04
	v_mov_b32_e32 v41, s20                                     // 000000004128: 7E520214
	v_readlane_b32 s21, v5, 63                                 // 00000000412C: D2890015 00017F05
	v_mov_b32_e32 v42, s21                                     // 000000004134: 7E540215
	v_readlane_b32 s22, v6, 63                                 // 000000004138: D2890016 00017F06
	v_mov_b32_e32 v43, s22                                     // 000000004140: 7E560216
	v_add_f32_e32 v47, v47, v41                                // 000000004144: 025E532F
	v_add_f32_e32 v48, v48, v42                                // 000000004148: 02605530
	v_add_f32_e32 v49, v49, v43                                // 00000000414C: 02625731
	v_cmp_eq_f32_e64 s[24:25], v41, v17                        // 000000004150: D0420018 00022329
	v_cmp_eq_f32_e64 s[26:27], v41, v18                        // 000000004158: D042001A 00022529
	v_cmp_eq_f32_e64 s[28:29], v41, v19                        // 000000004160: D042001C 00022729
	v_cmp_eq_f32_e64 s[30:31], v41, v20                        // 000000004168: D042001E 00022929
	s_ff1_i32_b64 s48, s[24:25]                                // 000000004170: BEB01118
	s_ff1_i32_b64 s49, s[26:27]                                // 000000004174: BEB1111A
	s_ff1_i32_b64 s50, s[28:29]                                // 000000004178: BEB2111C
	s_ff1_i32_b64 s51, s[30:31]                                // 00000000417C: BEB3111E
	v_cmp_eq_f32_e64 s[32:33], v42, v21                        // 000000004180: D0420020 00022B2A
	v_cmp_eq_f32_e64 s[34:35], v42, v22                        // 000000004188: D0420022 00022D2A
	v_cmp_eq_f32_e64 s[36:37], v42, v23                        // 000000004190: D0420024 00022F2A
	v_cmp_eq_f32_e64 s[38:39], v42, v24                        // 000000004198: D0420026 0002312A
	s_ff1_i32_b64 s52, s[32:33]                                // 0000000041A0: BEB41120
	s_ff1_i32_b64 s53, s[34:35]                                // 0000000041A4: BEB51122
	s_ff1_i32_b64 s54, s[36:37]                                // 0000000041A8: BEB61124
	s_ff1_i32_b64 s55, s[38:39]                                // 0000000041AC: BEB71126
	v_cmp_eq_f32_e64 s[40:41], v43, v25                        // 0000000041B0: D0420028 0002332B
	v_cmp_eq_f32_e64 s[42:43], v43, v26                        // 0000000041B8: D042002A 0002352B
	v_cmp_eq_f32_e64 s[44:45], v43, v27                        // 0000000041C0: D042002C 0002372B
	v_cmp_eq_f32_e64 s[46:47], v43, v28                        // 0000000041C8: D042002E 0002392B
	s_ff1_i32_b64 s56, s[40:41]                                // 0000000041D0: BEB81128
	s_ff1_i32_b64 s57, s[42:43]                                // 0000000041D4: BEB9112A
	s_ff1_i32_b64 s58, s[44:45]                                // 0000000041D8: BEBA112C
	s_ff1_i32_b64 s59, s[46:47]                                // 0000000041DC: BEBB112E
	v_readlane_b32 s20, v41, 0                                 // 0000000041E0: D2890014 00010129
	v_writelane_b32 v32, s20, 3                                // 0000000041E8: D28A0020 00010614
	v_readlane_b32 s21, v42, 0                                 // 0000000041F0: D2890015 0001012A
	v_writelane_b32 v33, s21, 3                                // 0000000041F8: D28A0021 00010615
	v_readlane_b32 s22, v43, 0                                 // 000000004200: D2890016 0001012B
	v_writelane_b32 v34, s22, 3                                // 000000004208: D28A0022 00010616
	s_mov_b32 s22, s48                                         // 000000004210: BE960030
	s_cmp_eq_u32 s48, -1                                       // 000000004214: BF06C130
	s_cselect_b32 s21, 1, 0                                    // 000000004218: 85158081
	s_cbranch_scc0 label_0998                                  // 00000000421C: BF840010
	s_add_u32 s75, s21, s75                                    // 000000004220: 804B4B15
	s_mov_b32 s22, s49                                         // 000000004224: BE960031
	s_cmp_eq_u32 s49, -1                                       // 000000004228: BF06C131
	s_cselect_b32 s21, 1, 0                                    // 00000000422C: 85158081
	s_cbranch_scc0 label_0998                                  // 000000004230: BF84000B
	s_add_u32 s75, s21, s75                                    // 000000004234: 804B4B15
	s_mov_b32 s22, s50                                         // 000000004238: BE960032
	s_cmp_eq_u32 s50, -1                                       // 00000000423C: BF06C132
	s_cselect_b32 s21, 1, 0                                    // 000000004240: 85158081
	s_cbranch_scc0 label_0998                                  // 000000004244: BF840006
	s_add_u32 s75, s21, s75                                    // 000000004248: 804B4B15
	s_mov_b32 s22, s51                                         // 00000000424C: BE960033
	s_cmp_eq_u32 s51, -1                                       // 000000004250: BF06C133
	s_cselect_b32 s21, 1, 0                                    // 000000004254: 85158081
	s_cbranch_scc0 label_0998                                  // 000000004258: BF840001
	s_add_u32 s75, s21, s75                                    // 00000000425C: 804B4B15

0000000000004260 <label_0998>:
	s_set_gpr_idx_on s75, gpr_idx(DST)                         // 000000004260: BF11084B
	v_writelane_b32 v17, 0, s22                                // 000000004264: D28A0011 00002C80
	s_set_gpr_idx_off                                          // 00000000426C: BF9C0000
	s_mul_i32 s75, 64, s75                                     // 000000004270: 924B4BC0
	s_add_u32 s75, s22, s75                                    // 000000004274: 804B4B16
	v_writelane_b32 v29, s75, 3                                // 000000004278: D28A001D 0001064B
	s_mov_b32 s22, s52                                         // 000000004280: BE960034
	s_cmp_eq_u32 s52, -1                                       // 000000004284: BF06C134
	s_cselect_b32 s21, 1, 0                                    // 000000004288: 85158081
	s_cbranch_scc0 label_09B4                                  // 00000000428C: BF840010
	s_add_u32 s83, s21, s83                                    // 000000004290: 80535315
	s_mov_b32 s22, s53                                         // 000000004294: BE960035
	s_cmp_eq_u32 s53, -1                                       // 000000004298: BF06C135
	s_cselect_b32 s21, 1, 0                                    // 00000000429C: 85158081
	s_cbranch_scc0 label_09B4                                  // 0000000042A0: BF84000B
	s_add_u32 s83, s21, s83                                    // 0000000042A4: 80535315
	s_mov_b32 s22, s54                                         // 0000000042A8: BE960036
	s_cmp_eq_u32 s54, -1                                       // 0000000042AC: BF06C136
	s_cselect_b32 s21, 1, 0                                    // 0000000042B0: 85158081
	s_cbranch_scc0 label_09B4                                  // 0000000042B4: BF840006
	s_add_u32 s83, s21, s83                                    // 0000000042B8: 80535315
	s_mov_b32 s22, s55                                         // 0000000042BC: BE960037
	s_cmp_eq_u32 s55, -1                                       // 0000000042C0: BF06C137
	s_cselect_b32 s21, 1, 0                                    // 0000000042C4: 85158081
	s_cbranch_scc0 label_09B4                                  // 0000000042C8: BF840001
	s_add_u32 s83, s21, s83                                    // 0000000042CC: 80535315

00000000000042d0 <label_09B4>:
	s_set_gpr_idx_on s83, gpr_idx(DST)                         // 0000000042D0: BF110853
	v_writelane_b32 v21, 0, s22                                // 0000000042D4: D28A0015 00002C80
	s_set_gpr_idx_off                                          // 0000000042DC: BF9C0000
	s_mul_i32 s83, 64, s83                                     // 0000000042E0: 925353C0
	s_add_u32 s83, s22, s83                                    // 0000000042E4: 80535316
	v_writelane_b32 v30, s83, 3                                // 0000000042E8: D28A001E 00010653
	s_mov_b32 s22, s56                                         // 0000000042F0: BE960038
	s_cmp_eq_u32 s56, -1                                       // 0000000042F4: BF06C138
	s_cselect_b32 s21, 1, 0                                    // 0000000042F8: 85158081
	s_cbranch_scc0 label_09D0                                  // 0000000042FC: BF840010
	s_add_u32 s91, s21, s91                                    // 000000004300: 805B5B15
	s_mov_b32 s22, s57                                         // 000000004304: BE960039
	s_cmp_eq_u32 s57, -1                                       // 000000004308: BF06C139
	s_cselect_b32 s21, 1, 0                                    // 00000000430C: 85158081
	s_cbranch_scc0 label_09D0                                  // 000000004310: BF84000B
	s_add_u32 s91, s21, s91                                    // 000000004314: 805B5B15
	s_mov_b32 s22, s58                                         // 000000004318: BE96003A
	s_cmp_eq_u32 s58, -1                                       // 00000000431C: BF06C13A
	s_cselect_b32 s21, 1, 0                                    // 000000004320: 85158081
	s_cbranch_scc0 label_09D0                                  // 000000004324: BF840006
	s_add_u32 s91, s21, s91                                    // 000000004328: 805B5B15
	s_mov_b32 s22, s59                                         // 00000000432C: BE96003B
	s_cmp_eq_u32 s59, -1                                       // 000000004330: BF06C13B
	s_cselect_b32 s21, 1, 0                                    // 000000004334: 85158081
	s_cbranch_scc0 label_09D0                                  // 000000004338: BF840001
	s_add_u32 s91, s21, s91                                    // 00000000433C: 805B5B15

0000000000004340 <label_09D0>:
	s_set_gpr_idx_on s91, gpr_idx(DST)                         // 000000004340: BF11085B
	v_writelane_b32 v25, 0, s22                                // 000000004344: D28A0019 00002C80
	s_set_gpr_idx_off                                          // 00000000434C: BF9C0000
	s_mul_i32 s91, 64, s91                                     // 000000004350: 925B5BC0
	s_add_u32 s91, s22, s91                                    // 000000004354: 805B5B16
	v_writelane_b32 v31, s91, 3                                // 000000004358: D28A001F 0001065B
	v_max_f32_e32 v41, v17, v18                                // 000000004360: 16522511
	v_max3_f32 v41, v41, v19, v20                              // 000000004364: D1D30029 04522729
	v_max_f32_e32 v42, v21, v22                                // 00000000436C: 16542D15
	v_max3_f32 v42, v42, v23, v24                              // 000000004370: D1D3002A 04622F2A
	v_max_f32_e32 v43, v25, v26                                // 000000004378: 16563519
	v_max3_f32 v43, v43, v27, v28                              // 00000000437C: D1D3002B 0472372B
	v_max_f32_dpp v4, v41, v41 quad_perm:[1,0,3,2] row_mask:0xf bank_mask:0xf// 000000004384: 160852FA FF00B129
	v_max_f32_dpp v5, v42, v42 quad_perm:[1,0,3,2] row_mask:0xf bank_mask:0xf// 00000000438C: 160A54FA FF00B12A
	v_max_f32_dpp v6, v43, v43 quad_perm:[1,0,3,2] row_mask:0xf bank_mask:0xf// 000000004394: 160C56FA FF00B12B
	v_max_f32_dpp v4, v4, v4 quad_perm:[2,3,0,1] row_mask:0xf bank_mask:0xf// 00000000439C: 160808FA FF004E04
	v_max_f32_dpp v5, v5, v5 quad_perm:[2,3,0,1] row_mask:0xf bank_mask:0xf// 0000000043A4: 160A0AFA FF004E05
	v_max_f32_dpp v6, v6, v6 quad_perm:[2,3,0,1] row_mask:0xf bank_mask:0xf// 0000000043AC: 160C0CFA FF004E06
	v_max_f32_dpp v4, v4, v4 row_shr:4 row_mask:0xf bank_mask:0xf// 0000000043B4: 160808FA FF011404
	v_max_f32_dpp v5, v5, v5 row_shr:4 row_mask:0xf bank_mask:0xf// 0000000043BC: 160A0AFA FF011405
	v_max_f32_dpp v6, v6, v6 row_shr:4 row_mask:0xf bank_mask:0xf// 0000000043C4: 160C0CFA FF011406
	v_max_f32_dpp v4, v4, v4 row_shr:8 row_mask:0xf bank_mask:0xf// 0000000043CC: 160808FA FF011804
	v_max_f32_dpp v5, v5, v5 row_shr:8 row_mask:0xf bank_mask:0xf// 0000000043D4: 160A0AFA FF011805
	v_max_f32_dpp v6, v6, v6 row_shr:8 row_mask:0xf bank_mask:0xf// 0000000043DC: 160C0CFA FF011806
	v_max_f32_dpp v4, v4, v4 row_bcast:15 row_mask:0xf bank_mask:0xf// 0000000043E4: 160808FA FF014204
	v_max_f32_dpp v5, v5, v5 row_bcast:15 row_mask:0xf bank_mask:0xf// 0000000043EC: 160A0AFA FF014205
	v_max_f32_dpp v6, v6, v6 row_bcast:15 row_mask:0xf bank_mask:0xf// 0000000043F4: 160C0CFA FF014206
	v_max_f32_dpp v4, v4, v4 row_bcast:31 row_mask:0xf bank_mask:0xf// 0000000043FC: 160808FA FF014304
	v_max_f32_dpp v5, v5, v5 row_bcast:31 row_mask:0xf bank_mask:0xf// 000000004404: 160A0AFA FF014305
	v_max_f32_dpp v6, v6, v6 row_bcast:31 row_mask:0xf bank_mask:0xf// 00000000440C: 160C0CFA FF014306
	v_readlane_b32 s20, v4, 63                                 // 000000004414: D2890014 00017F04
	v_mov_b32_e32 v41, s20                                     // 00000000441C: 7E520214
	v_readlane_b32 s21, v5, 63                                 // 000000004420: D2890015 00017F05
	v_mov_b32_e32 v42, s21                                     // 000000004428: 7E540215
	v_readlane_b32 s22, v6, 63                                 // 00000000442C: D2890016 00017F06
	v_mov_b32_e32 v43, s22                                     // 000000004434: 7E560216
	v_add_f32_e32 v47, v47, v41                                // 000000004438: 025E532F
	v_add_f32_e32 v48, v48, v42                                // 00000000443C: 02605530
	v_add_f32_e32 v49, v49, v43                                // 000000004440: 02625731
	v_cmp_eq_f32_e64 s[24:25], v41, v17                        // 000000004444: D0420018 00022329
	v_cmp_eq_f32_e64 s[26:27], v41, v18                        // 00000000444C: D042001A 00022529
	v_cmp_eq_f32_e64 s[28:29], v41, v19                        // 000000004454: D042001C 00022729
	v_cmp_eq_f32_e64 s[30:31], v41, v20                        // 00000000445C: D042001E 00022929
	s_ff1_i32_b64 s48, s[24:25]                                // 000000004464: BEB01118
	s_ff1_i32_b64 s49, s[26:27]                                // 000000004468: BEB1111A
	s_ff1_i32_b64 s50, s[28:29]                                // 00000000446C: BEB2111C
	s_ff1_i32_b64 s51, s[30:31]                                // 000000004470: BEB3111E
	v_cmp_eq_f32_e64 s[32:33], v42, v21                        // 000000004474: D0420020 00022B2A
	v_cmp_eq_f32_e64 s[34:35], v42, v22                        // 00000000447C: D0420022 00022D2A
	v_cmp_eq_f32_e64 s[36:37], v42, v23                        // 000000004484: D0420024 00022F2A
	v_cmp_eq_f32_e64 s[38:39], v42, v24                        // 00000000448C: D0420026 0002312A
	s_ff1_i32_b64 s52, s[32:33]                                // 000000004494: BEB41120
	s_ff1_i32_b64 s53, s[34:35]                                // 000000004498: BEB51122
	s_ff1_i32_b64 s54, s[36:37]                                // 00000000449C: BEB61124
	s_ff1_i32_b64 s55, s[38:39]                                // 0000000044A0: BEB71126
	v_cmp_eq_f32_e64 s[40:41], v43, v25                        // 0000000044A4: D0420028 0002332B
	v_cmp_eq_f32_e64 s[42:43], v43, v26                        // 0000000044AC: D042002A 0002352B
	v_cmp_eq_f32_e64 s[44:45], v43, v27                        // 0000000044B4: D042002C 0002372B
	v_cmp_eq_f32_e64 s[46:47], v43, v28                        // 0000000044BC: D042002E 0002392B
	s_ff1_i32_b64 s56, s[40:41]                                // 0000000044C4: BEB81128
	s_ff1_i32_b64 s57, s[42:43]                                // 0000000044C8: BEB9112A
	s_ff1_i32_b64 s58, s[44:45]                                // 0000000044CC: BEBA112C
	s_ff1_i32_b64 s59, s[46:47]                                // 0000000044D0: BEBB112E
	v_readlane_b32 s20, v41, 0                                 // 0000000044D4: D2890014 00010129
	v_writelane_b32 v32, s20, 4                                // 0000000044DC: D28A0020 00010814
	v_readlane_b32 s21, v42, 0                                 // 0000000044E4: D2890015 0001012A
	v_writelane_b32 v33, s21, 4                                // 0000000044EC: D28A0021 00010815
	v_readlane_b32 s22, v43, 0                                 // 0000000044F4: D2890016 0001012B
	v_writelane_b32 v34, s22, 4                                // 0000000044FC: D28A0022 00010816
	s_mov_b32 s22, s48                                         // 000000004504: BE960030
	s_cmp_eq_u32 s48, -1                                       // 000000004508: BF06C130
	s_cselect_b32 s21, 1, 0                                    // 00000000450C: 85158081
	s_cbranch_scc0 label_0A55                                  // 000000004510: BF840010
	s_add_u32 s76, s21, s76                                    // 000000004514: 804C4C15
	s_mov_b32 s22, s49                                         // 000000004518: BE960031
	s_cmp_eq_u32 s49, -1                                       // 00000000451C: BF06C131
	s_cselect_b32 s21, 1, 0                                    // 000000004520: 85158081
	s_cbranch_scc0 label_0A55                                  // 000000004524: BF84000B
	s_add_u32 s76, s21, s76                                    // 000000004528: 804C4C15
	s_mov_b32 s22, s50                                         // 00000000452C: BE960032
	s_cmp_eq_u32 s50, -1                                       // 000000004530: BF06C132
	s_cselect_b32 s21, 1, 0                                    // 000000004534: 85158081
	s_cbranch_scc0 label_0A55                                  // 000000004538: BF840006
	s_add_u32 s76, s21, s76                                    // 00000000453C: 804C4C15
	s_mov_b32 s22, s51                                         // 000000004540: BE960033
	s_cmp_eq_u32 s51, -1                                       // 000000004544: BF06C133
	s_cselect_b32 s21, 1, 0                                    // 000000004548: 85158081
	s_cbranch_scc0 label_0A55                                  // 00000000454C: BF840001
	s_add_u32 s76, s21, s76                                    // 000000004550: 804C4C15

0000000000004554 <label_0A55>:
	s_set_gpr_idx_on s76, gpr_idx(DST)                         // 000000004554: BF11084C
	v_writelane_b32 v17, 0, s22                                // 000000004558: D28A0011 00002C80
	s_set_gpr_idx_off                                          // 000000004560: BF9C0000
	s_mul_i32 s76, 64, s76                                     // 000000004564: 924C4CC0
	s_add_u32 s76, s22, s76                                    // 000000004568: 804C4C16
	v_writelane_b32 v29, s76, 4                                // 00000000456C: D28A001D 0001084C
	s_mov_b32 s22, s52                                         // 000000004574: BE960034
	s_cmp_eq_u32 s52, -1                                       // 000000004578: BF06C134
	s_cselect_b32 s21, 1, 0                                    // 00000000457C: 85158081
	s_cbranch_scc0 label_0A71                                  // 000000004580: BF840010
	s_add_u32 s84, s21, s84                                    // 000000004584: 80545415
	s_mov_b32 s22, s53                                         // 000000004588: BE960035
	s_cmp_eq_u32 s53, -1                                       // 00000000458C: BF06C135
	s_cselect_b32 s21, 1, 0                                    // 000000004590: 85158081
	s_cbranch_scc0 label_0A71                                  // 000000004594: BF84000B
	s_add_u32 s84, s21, s84                                    // 000000004598: 80545415
	s_mov_b32 s22, s54                                         // 00000000459C: BE960036
	s_cmp_eq_u32 s54, -1                                       // 0000000045A0: BF06C136
	s_cselect_b32 s21, 1, 0                                    // 0000000045A4: 85158081
	s_cbranch_scc0 label_0A71                                  // 0000000045A8: BF840006
	s_add_u32 s84, s21, s84                                    // 0000000045AC: 80545415
	s_mov_b32 s22, s55                                         // 0000000045B0: BE960037
	s_cmp_eq_u32 s55, -1                                       // 0000000045B4: BF06C137
	s_cselect_b32 s21, 1, 0                                    // 0000000045B8: 85158081
	s_cbranch_scc0 label_0A71                                  // 0000000045BC: BF840001
	s_add_u32 s84, s21, s84                                    // 0000000045C0: 80545415

00000000000045c4 <label_0A71>:
	s_set_gpr_idx_on s84, gpr_idx(DST)                         // 0000000045C4: BF110854
	v_writelane_b32 v21, 0, s22                                // 0000000045C8: D28A0015 00002C80
	s_set_gpr_idx_off                                          // 0000000045D0: BF9C0000
	s_mul_i32 s84, 64, s84                                     // 0000000045D4: 925454C0
	s_add_u32 s84, s22, s84                                    // 0000000045D8: 80545416
	v_writelane_b32 v30, s84, 4                                // 0000000045DC: D28A001E 00010854
	s_mov_b32 s22, s56                                         // 0000000045E4: BE960038
	s_cmp_eq_u32 s56, -1                                       // 0000000045E8: BF06C138
	s_cselect_b32 s21, 1, 0                                    // 0000000045EC: 85158081
	s_cbranch_scc0 label_0A8D                                  // 0000000045F0: BF840010
	s_add_u32 s92, s21, s92                                    // 0000000045F4: 805C5C15
	s_mov_b32 s22, s57                                         // 0000000045F8: BE960039
	s_cmp_eq_u32 s57, -1                                       // 0000000045FC: BF06C139
	s_cselect_b32 s21, 1, 0                                    // 000000004600: 85158081
	s_cbranch_scc0 label_0A8D                                  // 000000004604: BF84000B
	s_add_u32 s92, s21, s92                                    // 000000004608: 805C5C15
	s_mov_b32 s22, s58                                         // 00000000460C: BE96003A
	s_cmp_eq_u32 s58, -1                                       // 000000004610: BF06C13A
	s_cselect_b32 s21, 1, 0                                    // 000000004614: 85158081
	s_cbranch_scc0 label_0A8D                                  // 000000004618: BF840006
	s_add_u32 s92, s21, s92                                    // 00000000461C: 805C5C15
	s_mov_b32 s22, s59                                         // 000000004620: BE96003B
	s_cmp_eq_u32 s59, -1                                       // 000000004624: BF06C13B
	s_cselect_b32 s21, 1, 0                                    // 000000004628: 85158081
	s_cbranch_scc0 label_0A8D                                  // 00000000462C: BF840001
	s_add_u32 s92, s21, s92                                    // 000000004630: 805C5C15

0000000000004634 <label_0A8D>:
	s_set_gpr_idx_on s92, gpr_idx(DST)                         // 000000004634: BF11085C
	v_writelane_b32 v25, 0, s22                                // 000000004638: D28A0019 00002C80
	s_set_gpr_idx_off                                          // 000000004640: BF9C0000
	s_mul_i32 s92, 64, s92                                     // 000000004644: 925C5CC0
	s_add_u32 s92, s22, s92                                    // 000000004648: 805C5C16
	v_writelane_b32 v31, s92, 4                                // 00000000464C: D28A001F 0001085C
	v_max_f32_e32 v41, v17, v18                                // 000000004654: 16522511
	v_max3_f32 v41, v41, v19, v20                              // 000000004658: D1D30029 04522729
	v_max_f32_e32 v42, v21, v22                                // 000000004660: 16542D15
	v_max3_f32 v42, v42, v23, v24                              // 000000004664: D1D3002A 04622F2A
	v_max_f32_e32 v43, v25, v26                                // 00000000466C: 16563519
	v_max3_f32 v43, v43, v27, v28                              // 000000004670: D1D3002B 0472372B
	v_max_f32_dpp v4, v41, v41 quad_perm:[1,0,3,2] row_mask:0xf bank_mask:0xf// 000000004678: 160852FA FF00B129
	v_max_f32_dpp v5, v42, v42 quad_perm:[1,0,3,2] row_mask:0xf bank_mask:0xf// 000000004680: 160A54FA FF00B12A
	v_max_f32_dpp v6, v43, v43 quad_perm:[1,0,3,2] row_mask:0xf bank_mask:0xf// 000000004688: 160C56FA FF00B12B
	v_max_f32_dpp v4, v4, v4 quad_perm:[2,3,0,1] row_mask:0xf bank_mask:0xf// 000000004690: 160808FA FF004E04
	v_max_f32_dpp v5, v5, v5 quad_perm:[2,3,0,1] row_mask:0xf bank_mask:0xf// 000000004698: 160A0AFA FF004E05
	v_max_f32_dpp v6, v6, v6 quad_perm:[2,3,0,1] row_mask:0xf bank_mask:0xf// 0000000046A0: 160C0CFA FF004E06
	v_max_f32_dpp v4, v4, v4 row_shr:4 row_mask:0xf bank_mask:0xf// 0000000046A8: 160808FA FF011404
	v_max_f32_dpp v5, v5, v5 row_shr:4 row_mask:0xf bank_mask:0xf// 0000000046B0: 160A0AFA FF011405
	v_max_f32_dpp v6, v6, v6 row_shr:4 row_mask:0xf bank_mask:0xf// 0000000046B8: 160C0CFA FF011406
	v_max_f32_dpp v4, v4, v4 row_shr:8 row_mask:0xf bank_mask:0xf// 0000000046C0: 160808FA FF011804
	v_max_f32_dpp v5, v5, v5 row_shr:8 row_mask:0xf bank_mask:0xf// 0000000046C8: 160A0AFA FF011805
	v_max_f32_dpp v6, v6, v6 row_shr:8 row_mask:0xf bank_mask:0xf// 0000000046D0: 160C0CFA FF011806
	v_max_f32_dpp v4, v4, v4 row_bcast:15 row_mask:0xf bank_mask:0xf// 0000000046D8: 160808FA FF014204
	v_max_f32_dpp v5, v5, v5 row_bcast:15 row_mask:0xf bank_mask:0xf// 0000000046E0: 160A0AFA FF014205
	v_max_f32_dpp v6, v6, v6 row_bcast:15 row_mask:0xf bank_mask:0xf// 0000000046E8: 160C0CFA FF014206
	v_max_f32_dpp v4, v4, v4 row_bcast:31 row_mask:0xf bank_mask:0xf// 0000000046F0: 160808FA FF014304
	v_max_f32_dpp v5, v5, v5 row_bcast:31 row_mask:0xf bank_mask:0xf// 0000000046F8: 160A0AFA FF014305
	v_max_f32_dpp v6, v6, v6 row_bcast:31 row_mask:0xf bank_mask:0xf// 000000004700: 160C0CFA FF014306
	v_readlane_b32 s20, v4, 63                                 // 000000004708: D2890014 00017F04
	v_mov_b32_e32 v41, s20                                     // 000000004710: 7E520214
	v_readlane_b32 s21, v5, 63                                 // 000000004714: D2890015 00017F05
	v_mov_b32_e32 v42, s21                                     // 00000000471C: 7E540215
	v_readlane_b32 s22, v6, 63                                 // 000000004720: D2890016 00017F06
	v_mov_b32_e32 v43, s22                                     // 000000004728: 7E560216
	v_add_f32_e32 v47, v47, v41                                // 00000000472C: 025E532F
	v_add_f32_e32 v48, v48, v42                                // 000000004730: 02605530
	v_add_f32_e32 v49, v49, v43                                // 000000004734: 02625731
	v_cmp_eq_f32_e64 s[24:25], v41, v17                        // 000000004738: D0420018 00022329
	v_cmp_eq_f32_e64 s[26:27], v41, v18                        // 000000004740: D042001A 00022529
	v_cmp_eq_f32_e64 s[28:29], v41, v19                        // 000000004748: D042001C 00022729
	v_cmp_eq_f32_e64 s[30:31], v41, v20                        // 000000004750: D042001E 00022929
	s_ff1_i32_b64 s48, s[24:25]                                // 000000004758: BEB01118
	s_ff1_i32_b64 s49, s[26:27]                                // 00000000475C: BEB1111A
	s_ff1_i32_b64 s50, s[28:29]                                // 000000004760: BEB2111C
	s_ff1_i32_b64 s51, s[30:31]                                // 000000004764: BEB3111E
	v_cmp_eq_f32_e64 s[32:33], v42, v21                        // 000000004768: D0420020 00022B2A
	v_cmp_eq_f32_e64 s[34:35], v42, v22                        // 000000004770: D0420022 00022D2A
	v_cmp_eq_f32_e64 s[36:37], v42, v23                        // 000000004778: D0420024 00022F2A
	v_cmp_eq_f32_e64 s[38:39], v42, v24                        // 000000004780: D0420026 0002312A
	s_ff1_i32_b64 s52, s[32:33]                                // 000000004788: BEB41120
	s_ff1_i32_b64 s53, s[34:35]                                // 00000000478C: BEB51122
	s_ff1_i32_b64 s54, s[36:37]                                // 000000004790: BEB61124
	s_ff1_i32_b64 s55, s[38:39]                                // 000000004794: BEB71126
	v_cmp_eq_f32_e64 s[40:41], v43, v25                        // 000000004798: D0420028 0002332B
	v_cmp_eq_f32_e64 s[42:43], v43, v26                        // 0000000047A0: D042002A 0002352B
	v_cmp_eq_f32_e64 s[44:45], v43, v27                        // 0000000047A8: D042002C 0002372B
	v_cmp_eq_f32_e64 s[46:47], v43, v28                        // 0000000047B0: D042002E 0002392B
	s_ff1_i32_b64 s56, s[40:41]                                // 0000000047B8: BEB81128
	s_ff1_i32_b64 s57, s[42:43]                                // 0000000047BC: BEB9112A
	s_ff1_i32_b64 s58, s[44:45]                                // 0000000047C0: BEBA112C
	s_ff1_i32_b64 s59, s[46:47]                                // 0000000047C4: BEBB112E
	v_readlane_b32 s20, v41, 0                                 // 0000000047C8: D2890014 00010129
	v_writelane_b32 v32, s20, 5                                // 0000000047D0: D28A0020 00010A14
	v_readlane_b32 s21, v42, 0                                 // 0000000047D8: D2890015 0001012A
	v_writelane_b32 v33, s21, 5                                // 0000000047E0: D28A0021 00010A15
	v_readlane_b32 s22, v43, 0                                 // 0000000047E8: D2890016 0001012B
	v_writelane_b32 v34, s22, 5                                // 0000000047F0: D28A0022 00010A16
	s_mov_b32 s22, s48                                         // 0000000047F8: BE960030
	s_cmp_eq_u32 s48, -1                                       // 0000000047FC: BF06C130
	s_cselect_b32 s21, 1, 0                                    // 000000004800: 85158081
	s_cbranch_scc0 label_0B12                                  // 000000004804: BF840010
	s_add_u32 s77, s21, s77                                    // 000000004808: 804D4D15
	s_mov_b32 s22, s49                                         // 00000000480C: BE960031
	s_cmp_eq_u32 s49, -1                                       // 000000004810: BF06C131
	s_cselect_b32 s21, 1, 0                                    // 000000004814: 85158081
	s_cbranch_scc0 label_0B12                                  // 000000004818: BF84000B
	s_add_u32 s77, s21, s77                                    // 00000000481C: 804D4D15
	s_mov_b32 s22, s50                                         // 000000004820: BE960032
	s_cmp_eq_u32 s50, -1                                       // 000000004824: BF06C132
	s_cselect_b32 s21, 1, 0                                    // 000000004828: 85158081
	s_cbranch_scc0 label_0B12                                  // 00000000482C: BF840006
	s_add_u32 s77, s21, s77                                    // 000000004830: 804D4D15
	s_mov_b32 s22, s51                                         // 000000004834: BE960033
	s_cmp_eq_u32 s51, -1                                       // 000000004838: BF06C133
	s_cselect_b32 s21, 1, 0                                    // 00000000483C: 85158081
	s_cbranch_scc0 label_0B12                                  // 000000004840: BF840001
	s_add_u32 s77, s21, s77                                    // 000000004844: 804D4D15

0000000000004848 <label_0B12>:
	s_set_gpr_idx_on s77, gpr_idx(DST)                         // 000000004848: BF11084D
	v_writelane_b32 v17, 0, s22                                // 00000000484C: D28A0011 00002C80
	s_set_gpr_idx_off                                          // 000000004854: BF9C0000
	s_mul_i32 s77, 64, s77                                     // 000000004858: 924D4DC0
	s_add_u32 s77, s22, s77                                    // 00000000485C: 804D4D16
	v_writelane_b32 v29, s77, 5                                // 000000004860: D28A001D 00010A4D
	s_mov_b32 s22, s52                                         // 000000004868: BE960034
	s_cmp_eq_u32 s52, -1                                       // 00000000486C: BF06C134
	s_cselect_b32 s21, 1, 0                                    // 000000004870: 85158081
	s_cbranch_scc0 label_0B2E                                  // 000000004874: BF840010
	s_add_u32 s85, s21, s85                                    // 000000004878: 80555515
	s_mov_b32 s22, s53                                         // 00000000487C: BE960035
	s_cmp_eq_u32 s53, -1                                       // 000000004880: BF06C135
	s_cselect_b32 s21, 1, 0                                    // 000000004884: 85158081
	s_cbranch_scc0 label_0B2E                                  // 000000004888: BF84000B
	s_add_u32 s85, s21, s85                                    // 00000000488C: 80555515
	s_mov_b32 s22, s54                                         // 000000004890: BE960036
	s_cmp_eq_u32 s54, -1                                       // 000000004894: BF06C136
	s_cselect_b32 s21, 1, 0                                    // 000000004898: 85158081
	s_cbranch_scc0 label_0B2E                                  // 00000000489C: BF840006
	s_add_u32 s85, s21, s85                                    // 0000000048A0: 80555515
	s_mov_b32 s22, s55                                         // 0000000048A4: BE960037
	s_cmp_eq_u32 s55, -1                                       // 0000000048A8: BF06C137
	s_cselect_b32 s21, 1, 0                                    // 0000000048AC: 85158081
	s_cbranch_scc0 label_0B2E                                  // 0000000048B0: BF840001
	s_add_u32 s85, s21, s85                                    // 0000000048B4: 80555515

00000000000048b8 <label_0B2E>:
	s_set_gpr_idx_on s85, gpr_idx(DST)                         // 0000000048B8: BF110855
	v_writelane_b32 v21, 0, s22                                // 0000000048BC: D28A0015 00002C80
	s_set_gpr_idx_off                                          // 0000000048C4: BF9C0000
	s_mul_i32 s85, 64, s85                                     // 0000000048C8: 925555C0
	s_add_u32 s85, s22, s85                                    // 0000000048CC: 80555516
	v_writelane_b32 v30, s85, 5                                // 0000000048D0: D28A001E 00010A55
	s_mov_b32 s22, s56                                         // 0000000048D8: BE960038
	s_cmp_eq_u32 s56, -1                                       // 0000000048DC: BF06C138
	s_cselect_b32 s21, 1, 0                                    // 0000000048E0: 85158081
	s_cbranch_scc0 label_0B4A                                  // 0000000048E4: BF840010
	s_add_u32 s93, s21, s93                                    // 0000000048E8: 805D5D15
	s_mov_b32 s22, s57                                         // 0000000048EC: BE960039
	s_cmp_eq_u32 s57, -1                                       // 0000000048F0: BF06C139
	s_cselect_b32 s21, 1, 0                                    // 0000000048F4: 85158081
	s_cbranch_scc0 label_0B4A                                  // 0000000048F8: BF84000B
	s_add_u32 s93, s21, s93                                    // 0000000048FC: 805D5D15
	s_mov_b32 s22, s58                                         // 000000004900: BE96003A
	s_cmp_eq_u32 s58, -1                                       // 000000004904: BF06C13A
	s_cselect_b32 s21, 1, 0                                    // 000000004908: 85158081
	s_cbranch_scc0 label_0B4A                                  // 00000000490C: BF840006
	s_add_u32 s93, s21, s93                                    // 000000004910: 805D5D15
	s_mov_b32 s22, s59                                         // 000000004914: BE96003B
	s_cmp_eq_u32 s59, -1                                       // 000000004918: BF06C13B
	s_cselect_b32 s21, 1, 0                                    // 00000000491C: 85158081
	s_cbranch_scc0 label_0B4A                                  // 000000004920: BF840001
	s_add_u32 s93, s21, s93                                    // 000000004924: 805D5D15

0000000000004928 <label_0B4A>:
	s_set_gpr_idx_on s93, gpr_idx(DST)                         // 000000004928: BF11085D
	v_writelane_b32 v25, 0, s22                                // 00000000492C: D28A0019 00002C80
	s_set_gpr_idx_off                                          // 000000004934: BF9C0000
	s_mul_i32 s93, 64, s93                                     // 000000004938: 925D5DC0
	s_add_u32 s93, s22, s93                                    // 00000000493C: 805D5D16
	v_writelane_b32 v31, s93, 5                                // 000000004940: D28A001F 00010A5D
	v_max_f32_e32 v41, v17, v18                                // 000000004948: 16522511
	v_max3_f32 v41, v41, v19, v20                              // 00000000494C: D1D30029 04522729
	v_max_f32_e32 v42, v21, v22                                // 000000004954: 16542D15
	v_max3_f32 v42, v42, v23, v24                              // 000000004958: D1D3002A 04622F2A
	v_max_f32_e32 v43, v25, v26                                // 000000004960: 16563519
	v_max3_f32 v43, v43, v27, v28                              // 000000004964: D1D3002B 0472372B
	v_max_f32_dpp v4, v41, v41 quad_perm:[1,0,3,2] row_mask:0xf bank_mask:0xf// 00000000496C: 160852FA FF00B129
	v_max_f32_dpp v5, v42, v42 quad_perm:[1,0,3,2] row_mask:0xf bank_mask:0xf// 000000004974: 160A54FA FF00B12A
	v_max_f32_dpp v6, v43, v43 quad_perm:[1,0,3,2] row_mask:0xf bank_mask:0xf// 00000000497C: 160C56FA FF00B12B
	v_max_f32_dpp v4, v4, v4 quad_perm:[2,3,0,1] row_mask:0xf bank_mask:0xf// 000000004984: 160808FA FF004E04
	v_max_f32_dpp v5, v5, v5 quad_perm:[2,3,0,1] row_mask:0xf bank_mask:0xf// 00000000498C: 160A0AFA FF004E05
	v_max_f32_dpp v6, v6, v6 quad_perm:[2,3,0,1] row_mask:0xf bank_mask:0xf// 000000004994: 160C0CFA FF004E06
	v_max_f32_dpp v4, v4, v4 row_shr:4 row_mask:0xf bank_mask:0xf// 00000000499C: 160808FA FF011404
	v_max_f32_dpp v5, v5, v5 row_shr:4 row_mask:0xf bank_mask:0xf// 0000000049A4: 160A0AFA FF011405
	v_max_f32_dpp v6, v6, v6 row_shr:4 row_mask:0xf bank_mask:0xf// 0000000049AC: 160C0CFA FF011406
	v_max_f32_dpp v4, v4, v4 row_shr:8 row_mask:0xf bank_mask:0xf// 0000000049B4: 160808FA FF011804
	v_max_f32_dpp v5, v5, v5 row_shr:8 row_mask:0xf bank_mask:0xf// 0000000049BC: 160A0AFA FF011805
	v_max_f32_dpp v6, v6, v6 row_shr:8 row_mask:0xf bank_mask:0xf// 0000000049C4: 160C0CFA FF011806
	v_max_f32_dpp v4, v4, v4 row_bcast:15 row_mask:0xf bank_mask:0xf// 0000000049CC: 160808FA FF014204
	v_max_f32_dpp v5, v5, v5 row_bcast:15 row_mask:0xf bank_mask:0xf// 0000000049D4: 160A0AFA FF014205
	v_max_f32_dpp v6, v6, v6 row_bcast:15 row_mask:0xf bank_mask:0xf// 0000000049DC: 160C0CFA FF014206
	v_max_f32_dpp v4, v4, v4 row_bcast:31 row_mask:0xf bank_mask:0xf// 0000000049E4: 160808FA FF014304
	v_max_f32_dpp v5, v5, v5 row_bcast:31 row_mask:0xf bank_mask:0xf// 0000000049EC: 160A0AFA FF014305
	v_max_f32_dpp v6, v6, v6 row_bcast:31 row_mask:0xf bank_mask:0xf// 0000000049F4: 160C0CFA FF014306
	v_readlane_b32 s20, v4, 63                                 // 0000000049FC: D2890014 00017F04
	v_mov_b32_e32 v41, s20                                     // 000000004A04: 7E520214
	v_readlane_b32 s21, v5, 63                                 // 000000004A08: D2890015 00017F05
	v_mov_b32_e32 v42, s21                                     // 000000004A10: 7E540215
	v_readlane_b32 s22, v6, 63                                 // 000000004A14: D2890016 00017F06
	v_mov_b32_e32 v43, s22                                     // 000000004A1C: 7E560216
	v_add_f32_e32 v47, v47, v41                                // 000000004A20: 025E532F
	v_add_f32_e32 v48, v48, v42                                // 000000004A24: 02605530
	v_add_f32_e32 v49, v49, v43                                // 000000004A28: 02625731
	v_cmp_eq_f32_e64 s[24:25], v41, v17                        // 000000004A2C: D0420018 00022329
	v_cmp_eq_f32_e64 s[26:27], v41, v18                        // 000000004A34: D042001A 00022529
	v_cmp_eq_f32_e64 s[28:29], v41, v19                        // 000000004A3C: D042001C 00022729
	v_cmp_eq_f32_e64 s[30:31], v41, v20                        // 000000004A44: D042001E 00022929
	s_ff1_i32_b64 s48, s[24:25]                                // 000000004A4C: BEB01118
	s_ff1_i32_b64 s49, s[26:27]                                // 000000004A50: BEB1111A
	s_ff1_i32_b64 s50, s[28:29]                                // 000000004A54: BEB2111C
	s_ff1_i32_b64 s51, s[30:31]                                // 000000004A58: BEB3111E
	v_cmp_eq_f32_e64 s[32:33], v42, v21                        // 000000004A5C: D0420020 00022B2A
	v_cmp_eq_f32_e64 s[34:35], v42, v22                        // 000000004A64: D0420022 00022D2A
	v_cmp_eq_f32_e64 s[36:37], v42, v23                        // 000000004A6C: D0420024 00022F2A
	v_cmp_eq_f32_e64 s[38:39], v42, v24                        // 000000004A74: D0420026 0002312A
	s_ff1_i32_b64 s52, s[32:33]                                // 000000004A7C: BEB41120
	s_ff1_i32_b64 s53, s[34:35]                                // 000000004A80: BEB51122
	s_ff1_i32_b64 s54, s[36:37]                                // 000000004A84: BEB61124
	s_ff1_i32_b64 s55, s[38:39]                                // 000000004A88: BEB71126
	v_cmp_eq_f32_e64 s[40:41], v43, v25                        // 000000004A8C: D0420028 0002332B
	v_cmp_eq_f32_e64 s[42:43], v43, v26                        // 000000004A94: D042002A 0002352B
	v_cmp_eq_f32_e64 s[44:45], v43, v27                        // 000000004A9C: D042002C 0002372B
	v_cmp_eq_f32_e64 s[46:47], v43, v28                        // 000000004AA4: D042002E 0002392B
	s_ff1_i32_b64 s56, s[40:41]                                // 000000004AAC: BEB81128
	s_ff1_i32_b64 s57, s[42:43]                                // 000000004AB0: BEB9112A
	s_ff1_i32_b64 s58, s[44:45]                                // 000000004AB4: BEBA112C
	s_ff1_i32_b64 s59, s[46:47]                                // 000000004AB8: BEBB112E
	v_readlane_b32 s20, v41, 0                                 // 000000004ABC: D2890014 00010129
	v_writelane_b32 v32, s20, 6                                // 000000004AC4: D28A0020 00010C14
	v_readlane_b32 s21, v42, 0                                 // 000000004ACC: D2890015 0001012A
	v_writelane_b32 v33, s21, 6                                // 000000004AD4: D28A0021 00010C15
	v_readlane_b32 s22, v43, 0                                 // 000000004ADC: D2890016 0001012B
	v_writelane_b32 v34, s22, 6                                // 000000004AE4: D28A0022 00010C16
	s_mov_b32 s22, s48                                         // 000000004AEC: BE960030
	s_cmp_eq_u32 s48, -1                                       // 000000004AF0: BF06C130
	s_cselect_b32 s21, 1, 0                                    // 000000004AF4: 85158081
	s_cbranch_scc0 label_0BCF                                  // 000000004AF8: BF840010
	s_add_u32 s78, s21, s78                                    // 000000004AFC: 804E4E15
	s_mov_b32 s22, s49                                         // 000000004B00: BE960031
	s_cmp_eq_u32 s49, -1                                       // 000000004B04: BF06C131
	s_cselect_b32 s21, 1, 0                                    // 000000004B08: 85158081
	s_cbranch_scc0 label_0BCF                                  // 000000004B0C: BF84000B
	s_add_u32 s78, s21, s78                                    // 000000004B10: 804E4E15
	s_mov_b32 s22, s50                                         // 000000004B14: BE960032
	s_cmp_eq_u32 s50, -1                                       // 000000004B18: BF06C132
	s_cselect_b32 s21, 1, 0                                    // 000000004B1C: 85158081
	s_cbranch_scc0 label_0BCF                                  // 000000004B20: BF840006
	s_add_u32 s78, s21, s78                                    // 000000004B24: 804E4E15
	s_mov_b32 s22, s51                                         // 000000004B28: BE960033
	s_cmp_eq_u32 s51, -1                                       // 000000004B2C: BF06C133
	s_cselect_b32 s21, 1, 0                                    // 000000004B30: 85158081
	s_cbranch_scc0 label_0BCF                                  // 000000004B34: BF840001
	s_add_u32 s78, s21, s78                                    // 000000004B38: 804E4E15

0000000000004b3c <label_0BCF>:
	s_set_gpr_idx_on s78, gpr_idx(DST)                         // 000000004B3C: BF11084E
	v_writelane_b32 v17, 0, s22                                // 000000004B40: D28A0011 00002C80
	s_set_gpr_idx_off                                          // 000000004B48: BF9C0000
	s_mul_i32 s78, 64, s78                                     // 000000004B4C: 924E4EC0
	s_add_u32 s78, s22, s78                                    // 000000004B50: 804E4E16
	v_writelane_b32 v29, s78, 6                                // 000000004B54: D28A001D 00010C4E
	s_mov_b32 s22, s52                                         // 000000004B5C: BE960034
	s_cmp_eq_u32 s52, -1                                       // 000000004B60: BF06C134
	s_cselect_b32 s21, 1, 0                                    // 000000004B64: 85158081
	s_cbranch_scc0 label_0BEB                                  // 000000004B68: BF840010
	s_add_u32 s86, s21, s86                                    // 000000004B6C: 80565615
	s_mov_b32 s22, s53                                         // 000000004B70: BE960035
	s_cmp_eq_u32 s53, -1                                       // 000000004B74: BF06C135
	s_cselect_b32 s21, 1, 0                                    // 000000004B78: 85158081
	s_cbranch_scc0 label_0BEB                                  // 000000004B7C: BF84000B
	s_add_u32 s86, s21, s86                                    // 000000004B80: 80565615
	s_mov_b32 s22, s54                                         // 000000004B84: BE960036
	s_cmp_eq_u32 s54, -1                                       // 000000004B88: BF06C136
	s_cselect_b32 s21, 1, 0                                    // 000000004B8C: 85158081
	s_cbranch_scc0 label_0BEB                                  // 000000004B90: BF840006
	s_add_u32 s86, s21, s86                                    // 000000004B94: 80565615
	s_mov_b32 s22, s55                                         // 000000004B98: BE960037
	s_cmp_eq_u32 s55, -1                                       // 000000004B9C: BF06C137
	s_cselect_b32 s21, 1, 0                                    // 000000004BA0: 85158081
	s_cbranch_scc0 label_0BEB                                  // 000000004BA4: BF840001
	s_add_u32 s86, s21, s86                                    // 000000004BA8: 80565615

0000000000004bac <label_0BEB>:
	s_set_gpr_idx_on s86, gpr_idx(DST)                         // 000000004BAC: BF110856
	v_writelane_b32 v21, 0, s22                                // 000000004BB0: D28A0015 00002C80
	s_set_gpr_idx_off                                          // 000000004BB8: BF9C0000
	s_mul_i32 s86, 64, s86                                     // 000000004BBC: 925656C0
	s_add_u32 s86, s22, s86                                    // 000000004BC0: 80565616
	v_writelane_b32 v30, s86, 6                                // 000000004BC4: D28A001E 00010C56
	s_mov_b32 s22, s56                                         // 000000004BCC: BE960038
	s_cmp_eq_u32 s56, -1                                       // 000000004BD0: BF06C138
	s_cselect_b32 s21, 1, 0                                    // 000000004BD4: 85158081
	s_cbranch_scc0 label_0C07                                  // 000000004BD8: BF840010
	s_add_u32 s94, s21, s94                                    // 000000004BDC: 805E5E15
	s_mov_b32 s22, s57                                         // 000000004BE0: BE960039
	s_cmp_eq_u32 s57, -1                                       // 000000004BE4: BF06C139
	s_cselect_b32 s21, 1, 0                                    // 000000004BE8: 85158081
	s_cbranch_scc0 label_0C07                                  // 000000004BEC: BF84000B
	s_add_u32 s94, s21, s94                                    // 000000004BF0: 805E5E15
	s_mov_b32 s22, s58                                         // 000000004BF4: BE96003A
	s_cmp_eq_u32 s58, -1                                       // 000000004BF8: BF06C13A
	s_cselect_b32 s21, 1, 0                                    // 000000004BFC: 85158081
	s_cbranch_scc0 label_0C07                                  // 000000004C00: BF840006
	s_add_u32 s94, s21, s94                                    // 000000004C04: 805E5E15
	s_mov_b32 s22, s59                                         // 000000004C08: BE96003B
	s_cmp_eq_u32 s59, -1                                       // 000000004C0C: BF06C13B
	s_cselect_b32 s21, 1, 0                                    // 000000004C10: 85158081
	s_cbranch_scc0 label_0C07                                  // 000000004C14: BF840001
	s_add_u32 s94, s21, s94                                    // 000000004C18: 805E5E15

0000000000004c1c <label_0C07>:
	s_set_gpr_idx_on s94, gpr_idx(DST)                         // 000000004C1C: BF11085E
	v_writelane_b32 v25, 0, s22                                // 000000004C20: D28A0019 00002C80
	s_set_gpr_idx_off                                          // 000000004C28: BF9C0000
	s_mul_i32 s94, 64, s94                                     // 000000004C2C: 925E5EC0
	s_add_u32 s94, s22, s94                                    // 000000004C30: 805E5E16
	v_writelane_b32 v31, s94, 6                                // 000000004C34: D28A001F 00010C5E
	v_max_f32_e32 v41, v17, v18                                // 000000004C3C: 16522511
	v_max3_f32 v41, v41, v19, v20                              // 000000004C40: D1D30029 04522729
	v_max_f32_e32 v42, v21, v22                                // 000000004C48: 16542D15
	v_max3_f32 v42, v42, v23, v24                              // 000000004C4C: D1D3002A 04622F2A
	v_max_f32_e32 v43, v25, v26                                // 000000004C54: 16563519
	v_max3_f32 v43, v43, v27, v28                              // 000000004C58: D1D3002B 0472372B
	v_max_f32_dpp v4, v41, v41 quad_perm:[1,0,3,2] row_mask:0xf bank_mask:0xf// 000000004C60: 160852FA FF00B129
	v_max_f32_dpp v5, v42, v42 quad_perm:[1,0,3,2] row_mask:0xf bank_mask:0xf// 000000004C68: 160A54FA FF00B12A
	v_max_f32_dpp v6, v43, v43 quad_perm:[1,0,3,2] row_mask:0xf bank_mask:0xf// 000000004C70: 160C56FA FF00B12B
	v_max_f32_dpp v4, v4, v4 quad_perm:[2,3,0,1] row_mask:0xf bank_mask:0xf// 000000004C78: 160808FA FF004E04
	v_max_f32_dpp v5, v5, v5 quad_perm:[2,3,0,1] row_mask:0xf bank_mask:0xf// 000000004C80: 160A0AFA FF004E05
	v_max_f32_dpp v6, v6, v6 quad_perm:[2,3,0,1] row_mask:0xf bank_mask:0xf// 000000004C88: 160C0CFA FF004E06
	v_max_f32_dpp v4, v4, v4 row_shr:4 row_mask:0xf bank_mask:0xf// 000000004C90: 160808FA FF011404
	v_max_f32_dpp v5, v5, v5 row_shr:4 row_mask:0xf bank_mask:0xf// 000000004C98: 160A0AFA FF011405
	v_max_f32_dpp v6, v6, v6 row_shr:4 row_mask:0xf bank_mask:0xf// 000000004CA0: 160C0CFA FF011406
	v_max_f32_dpp v4, v4, v4 row_shr:8 row_mask:0xf bank_mask:0xf// 000000004CA8: 160808FA FF011804
	v_max_f32_dpp v5, v5, v5 row_shr:8 row_mask:0xf bank_mask:0xf// 000000004CB0: 160A0AFA FF011805
	v_max_f32_dpp v6, v6, v6 row_shr:8 row_mask:0xf bank_mask:0xf// 000000004CB8: 160C0CFA FF011806
	v_max_f32_dpp v4, v4, v4 row_bcast:15 row_mask:0xf bank_mask:0xf// 000000004CC0: 160808FA FF014204
	v_max_f32_dpp v5, v5, v5 row_bcast:15 row_mask:0xf bank_mask:0xf// 000000004CC8: 160A0AFA FF014205
	v_max_f32_dpp v6, v6, v6 row_bcast:15 row_mask:0xf bank_mask:0xf// 000000004CD0: 160C0CFA FF014206
	v_max_f32_dpp v4, v4, v4 row_bcast:31 row_mask:0xf bank_mask:0xf// 000000004CD8: 160808FA FF014304
	v_max_f32_dpp v5, v5, v5 row_bcast:31 row_mask:0xf bank_mask:0xf// 000000004CE0: 160A0AFA FF014305
	v_max_f32_dpp v6, v6, v6 row_bcast:31 row_mask:0xf bank_mask:0xf// 000000004CE8: 160C0CFA FF014306
	v_readlane_b32 s20, v4, 63                                 // 000000004CF0: D2890014 00017F04
	v_mov_b32_e32 v41, s20                                     // 000000004CF8: 7E520214
	v_readlane_b32 s21, v5, 63                                 // 000000004CFC: D2890015 00017F05
	v_mov_b32_e32 v42, s21                                     // 000000004D04: 7E540215
	v_readlane_b32 s22, v6, 63                                 // 000000004D08: D2890016 00017F06
	v_mov_b32_e32 v43, s22                                     // 000000004D10: 7E560216
	v_add_f32_e32 v47, v47, v41                                // 000000004D14: 025E532F
	v_add_f32_e32 v48, v48, v42                                // 000000004D18: 02605530
	v_add_f32_e32 v49, v49, v43                                // 000000004D1C: 02625731
	v_cmp_eq_f32_e64 s[24:25], v41, v17                        // 000000004D20: D0420018 00022329
	v_cmp_eq_f32_e64 s[26:27], v41, v18                        // 000000004D28: D042001A 00022529
	v_cmp_eq_f32_e64 s[28:29], v41, v19                        // 000000004D30: D042001C 00022729
	v_cmp_eq_f32_e64 s[30:31], v41, v20                        // 000000004D38: D042001E 00022929
	s_ff1_i32_b64 s48, s[24:25]                                // 000000004D40: BEB01118
	s_ff1_i32_b64 s49, s[26:27]                                // 000000004D44: BEB1111A
	s_ff1_i32_b64 s50, s[28:29]                                // 000000004D48: BEB2111C
	s_ff1_i32_b64 s51, s[30:31]                                // 000000004D4C: BEB3111E
	v_cmp_eq_f32_e64 s[32:33], v42, v21                        // 000000004D50: D0420020 00022B2A
	v_cmp_eq_f32_e64 s[34:35], v42, v22                        // 000000004D58: D0420022 00022D2A
	v_cmp_eq_f32_e64 s[36:37], v42, v23                        // 000000004D60: D0420024 00022F2A
	v_cmp_eq_f32_e64 s[38:39], v42, v24                        // 000000004D68: D0420026 0002312A
	s_ff1_i32_b64 s52, s[32:33]                                // 000000004D70: BEB41120
	s_ff1_i32_b64 s53, s[34:35]                                // 000000004D74: BEB51122
	s_ff1_i32_b64 s54, s[36:37]                                // 000000004D78: BEB61124
	s_ff1_i32_b64 s55, s[38:39]                                // 000000004D7C: BEB71126
	v_cmp_eq_f32_e64 s[40:41], v43, v25                        // 000000004D80: D0420028 0002332B
	v_cmp_eq_f32_e64 s[42:43], v43, v26                        // 000000004D88: D042002A 0002352B
	v_cmp_eq_f32_e64 s[44:45], v43, v27                        // 000000004D90: D042002C 0002372B
	v_cmp_eq_f32_e64 s[46:47], v43, v28                        // 000000004D98: D042002E 0002392B
	s_ff1_i32_b64 s56, s[40:41]                                // 000000004DA0: BEB81128
	s_ff1_i32_b64 s57, s[42:43]                                // 000000004DA4: BEB9112A
	s_ff1_i32_b64 s58, s[44:45]                                // 000000004DA8: BEBA112C
	s_ff1_i32_b64 s59, s[46:47]                                // 000000004DAC: BEBB112E
	v_readlane_b32 s20, v41, 0                                 // 000000004DB0: D2890014 00010129
	v_writelane_b32 v32, s20, 7                                // 000000004DB8: D28A0020 00010E14
	v_readlane_b32 s21, v42, 0                                 // 000000004DC0: D2890015 0001012A
	v_writelane_b32 v33, s21, 7                                // 000000004DC8: D28A0021 00010E15
	v_readlane_b32 s22, v43, 0                                 // 000000004DD0: D2890016 0001012B
	v_writelane_b32 v34, s22, 7                                // 000000004DD8: D28A0022 00010E16
	s_mov_b32 s22, s48                                         // 000000004DE0: BE960030
	s_cmp_eq_u32 s48, -1                                       // 000000004DE4: BF06C130
	s_cselect_b32 s21, 1, 0                                    // 000000004DE8: 85158081
	s_cbranch_scc0 label_0C8C                                  // 000000004DEC: BF840010
	s_add_u32 s79, s21, s79                                    // 000000004DF0: 804F4F15
	s_mov_b32 s22, s49                                         // 000000004DF4: BE960031
	s_cmp_eq_u32 s49, -1                                       // 000000004DF8: BF06C131
	s_cselect_b32 s21, 1, 0                                    // 000000004DFC: 85158081
	s_cbranch_scc0 label_0C8C                                  // 000000004E00: BF84000B
	s_add_u32 s79, s21, s79                                    // 000000004E04: 804F4F15
	s_mov_b32 s22, s50                                         // 000000004E08: BE960032
	s_cmp_eq_u32 s50, -1                                       // 000000004E0C: BF06C132
	s_cselect_b32 s21, 1, 0                                    // 000000004E10: 85158081
	s_cbranch_scc0 label_0C8C                                  // 000000004E14: BF840006
	s_add_u32 s79, s21, s79                                    // 000000004E18: 804F4F15
	s_mov_b32 s22, s51                                         // 000000004E1C: BE960033
	s_cmp_eq_u32 s51, -1                                       // 000000004E20: BF06C133
	s_cselect_b32 s21, 1, 0                                    // 000000004E24: 85158081
	s_cbranch_scc0 label_0C8C                                  // 000000004E28: BF840001
	s_add_u32 s79, s21, s79                                    // 000000004E2C: 804F4F15

0000000000004e30 <label_0C8C>:
	s_set_gpr_idx_on s79, gpr_idx(DST)                         // 000000004E30: BF11084F
	v_writelane_b32 v17, 0, s22                                // 000000004E34: D28A0011 00002C80
	s_set_gpr_idx_off                                          // 000000004E3C: BF9C0000
	s_mul_i32 s79, 64, s79                                     // 000000004E40: 924F4FC0
	s_add_u32 s79, s22, s79                                    // 000000004E44: 804F4F16
	v_writelane_b32 v29, s79, 7                                // 000000004E48: D28A001D 00010E4F
	s_mov_b32 s22, s52                                         // 000000004E50: BE960034
	s_cmp_eq_u32 s52, -1                                       // 000000004E54: BF06C134
	s_cselect_b32 s21, 1, 0                                    // 000000004E58: 85158081
	s_cbranch_scc0 label_0CA8                                  // 000000004E5C: BF840010
	s_add_u32 s87, s21, s87                                    // 000000004E60: 80575715
	s_mov_b32 s22, s53                                         // 000000004E64: BE960035
	s_cmp_eq_u32 s53, -1                                       // 000000004E68: BF06C135
	s_cselect_b32 s21, 1, 0                                    // 000000004E6C: 85158081
	s_cbranch_scc0 label_0CA8                                  // 000000004E70: BF84000B
	s_add_u32 s87, s21, s87                                    // 000000004E74: 80575715
	s_mov_b32 s22, s54                                         // 000000004E78: BE960036
	s_cmp_eq_u32 s54, -1                                       // 000000004E7C: BF06C136
	s_cselect_b32 s21, 1, 0                                    // 000000004E80: 85158081
	s_cbranch_scc0 label_0CA8                                  // 000000004E84: BF840006
	s_add_u32 s87, s21, s87                                    // 000000004E88: 80575715
	s_mov_b32 s22, s55                                         // 000000004E8C: BE960037
	s_cmp_eq_u32 s55, -1                                       // 000000004E90: BF06C137
	s_cselect_b32 s21, 1, 0                                    // 000000004E94: 85158081
	s_cbranch_scc0 label_0CA8                                  // 000000004E98: BF840001
	s_add_u32 s87, s21, s87                                    // 000000004E9C: 80575715

0000000000004ea0 <label_0CA8>:
	s_set_gpr_idx_on s87, gpr_idx(DST)                         // 000000004EA0: BF110857
	v_writelane_b32 v21, 0, s22                                // 000000004EA4: D28A0015 00002C80
	s_set_gpr_idx_off                                          // 000000004EAC: BF9C0000
	s_mul_i32 s87, 64, s87                                     // 000000004EB0: 925757C0
	s_add_u32 s87, s22, s87                                    // 000000004EB4: 80575716
	v_writelane_b32 v30, s87, 7                                // 000000004EB8: D28A001E 00010E57
	s_mov_b32 s22, s56                                         // 000000004EC0: BE960038
	s_cmp_eq_u32 s56, -1                                       // 000000004EC4: BF06C138
	s_cselect_b32 s21, 1, 0                                    // 000000004EC8: 85158081
	s_cbranch_scc0 label_0CC4                                  // 000000004ECC: BF840010
	s_add_u32 s95, s21, s95                                    // 000000004ED0: 805F5F15
	s_mov_b32 s22, s57                                         // 000000004ED4: BE960039
	s_cmp_eq_u32 s57, -1                                       // 000000004ED8: BF06C139
	s_cselect_b32 s21, 1, 0                                    // 000000004EDC: 85158081
	s_cbranch_scc0 label_0CC4                                  // 000000004EE0: BF84000B
	s_add_u32 s95, s21, s95                                    // 000000004EE4: 805F5F15
	s_mov_b32 s22, s58                                         // 000000004EE8: BE96003A
	s_cmp_eq_u32 s58, -1                                       // 000000004EEC: BF06C13A
	s_cselect_b32 s21, 1, 0                                    // 000000004EF0: 85158081
	s_cbranch_scc0 label_0CC4                                  // 000000004EF4: BF840006
	s_add_u32 s95, s21, s95                                    // 000000004EF8: 805F5F15
	s_mov_b32 s22, s59                                         // 000000004EFC: BE96003B
	s_cmp_eq_u32 s59, -1                                       // 000000004F00: BF06C13B
	s_cselect_b32 s21, 1, 0                                    // 000000004F04: 85158081
	s_cbranch_scc0 label_0CC4                                  // 000000004F08: BF840001
	s_add_u32 s95, s21, s95                                    // 000000004F0C: 805F5F15

0000000000004f10 <label_0CC4>:
	s_set_gpr_idx_on s95, gpr_idx(DST)                         // 000000004F10: BF11085F
	v_writelane_b32 v25, 0, s22                                // 000000004F14: D28A0019 00002C80
	s_set_gpr_idx_off                                          // 000000004F1C: BF9C0000
	s_mul_i32 s95, 64, s95                                     // 000000004F20: 925F5FC0
	s_add_u32 s95, s22, s95                                    // 000000004F24: 805F5F16
	v_writelane_b32 v31, s95, 7                                // 000000004F28: D28A001F 00010E5F
	s_bfm_b64 exec, s18, 0                                     // 000000004F30: 91FE8012
	buffer_store_dword v29, v11, s[4:7], 0 offen               // 000000004F34: E0701000 80011D0B
	buffer_store_dword v30, v12, s[4:7], 0 offen               // 000000004F3C: E0701000 80011E0C
	buffer_store_dword v31, v13, s[4:7], 0 offen               // 000000004F44: E0701000 80011F0D
	v_rcp_f32_e32 v47, v47                                     // 000000004F4C: 7E5E452F
	v_rcp_f32_e32 v48, v48                                     // 000000004F50: 7E604530
	v_rcp_f32_e32 v49, v49                                     // 000000004F54: 7E624531
	v_mul_f32_e32 v32, v32, v47                                // 000000004F58: 0A405F20
	v_mul_f32_e32 v33, v33, v48                                // 000000004F5C: 0A426121
	v_mul_f32_e32 v34, v34, v49                                // 000000004F60: 0A446322
	buffer_store_dword v32, v14, s[8:11], 0 offen              // 000000004F64: E0701000 8002200E
	buffer_store_dword v33, v15, s[8:11], 0 offen              // 000000004F6C: E0701000 8002210F
	buffer_store_dword v34, v16, s[8:11], 0 offen              // 000000004F74: E0701000 80022210

0000000000004f7c <label_0CDF>:
	s_waitcnt vmcnt(0) expcnt(0) lgkmcnt(0)                    // 000000004F7C: BF8C0000
	s_endpgm                                                   // 000000004F80: BF810000
